;; amdgpu-corpus repo=ROCm/aiter kind=harvested arch=n/a opt=n/a

/root/src/amdgpu-assembly/repos/ROCm__aiter/hsa/gfx950/fmoe/silu/fmoe_bf16_pertokenInt8_g1u1_vs_multix_silu_1tg_ps_32x448.co:	file format elf64-amdgpu

Disassembly of section .text:

0000000000002e00 <_ZN5aiter56fmoe_bf16_pertokenInt8_g1u1_vs_multix_silu_1tg_ps_32x448E>:
	v_lshrrev_b32_e32 v1, 10, v0                               // 000000002E00: 2002008A
	v_lshrrev_b32_e32 v2, 10, v1                               // 000000002E04: 2004028A
	v_and_b32_e32 v2, 0x3ff, v2                                // 000000002E08: 260404FF 000003FF
	v_and_b32_e32 v1, 0x3ff, v1                                // 000000002E10: 260202FF 000003FF
	v_and_b32_e32 v0, 0x3ff, v0                                // 000000002E18: 260000FF 000003FF
	v_lshrrev_b32_e32 v3, 6, v0                                // 000000002E20: 20060086
	v_and_b32_e32 v0, 63, v0                                   // 000000002E24: 260000BF
	s_mov_b32 s2, s2                                           // 000000002E28: BE820002
	s_mov_b32 s3, s3                                           // 000000002E2C: BE830003
	s_mov_b32 s4, s4                                           // 000000002E30: BE840004
	s_mov_b32 s99, s2                                          // 000000002E34: BEE30002
	v_readfirstlane_b32 s7, v3                                 // 000000002E38: 7E0E0503
	s_and_b32 s1, s1, 0xffff                                   // 000000002E3C: 8601FF01 0000FFFF
	s_mov_b32 s96, 0                                           // 000000002E44: BEE00080
	s_mov_b32 s97, 0                                           // 000000002E48: BEE10080
	s_mov_b32 s100, 0                                          // 000000002E4C: BEE40080
	s_load_dword s96, s[0:1], 0x1a0                            // 000000002E50: C0021800 000001A0
	s_load_dword s97, s[0:1], 0x1b0                            // 000000002E58: C0021840 000001B0
	s_waitcnt lgkmcnt(0)                                       // 000000002E60: BF8CC07F
	s_cmp_eq_u32 s96, 0                                        // 000000002E64: BF068060
	s_cbranch_scc1 label_005C                                  // 000000002E68: BF850041
	v_cvt_f32_u32_e32 v52, s97                                 // 000000002E6C: 7E680C61
	s_sub_i32 s60, 0, s97                                      // 000000002E70: 81BC6180
	v_rcp_iflag_f32_e32 v52, v52                               // 000000002E74: 7E684734
	s_nop 0                                                    // 000000002E78: BF800000
	v_mul_f32_e32 v52, 0x4f7ffffe, v52                         // 000000002E7C: 0A6868FF 4F7FFFFE
	v_cvt_u32_f32_e32 v52, v52                                 // 000000002E84: 7E680F34
	v_mul_lo_u32 v53, s60, v52                                 // 000000002E88: D2850035 0002683C
	v_mul_hi_u32 v53, v52, v53                                 // 000000002E90: D2860035 00026B34
	v_add_u32_e32 v52, v52, v53                                // 000000002E98: 68686B34
	v_mul_hi_u32 v52, s96, v52                                 // 000000002E9C: D2860034 00026860
	v_mul_lo_u32 v53, v52, s97                                 // 000000002EA4: D2850035 0000C334
	v_sub_u32_e32 v55, s96, v53                                // 000000002EAC: 6A6E6A60
	v_add_u32_e32 v54, 1, v52                                  // 000000002EB0: 686C6881
	v_cmp_le_u32_e32 vcc, s97, v55                             // 000000002EB4: 7D966E61
	v_subrev_u32_e32 v53, s97, v55                             // 000000002EB8: 6C6A6E61
	s_nop 0                                                    // 000000002EBC: BF800000
	v_cndmask_b32_e32 v52, v52, v54, vcc                       // 000000002EC0: 00686D34
	v_cndmask_b32_e32 v55, v55, v53, vcc                       // 000000002EC4: 006E6B37
	v_add_u32_e32 v53, 1, v52                                  // 000000002EC8: 686A6881
	v_cmp_le_u32_e32 vcc, s97, v55                             // 000000002ECC: 7D966E61
	s_nop 1                                                    // 000000002ED0: BF800001
	v_cndmask_b32_e32 v55, v52, v53, vcc                       // 000000002ED4: 006E6B34
	s_nop 3                                                    // 000000002ED8: BF800003
	v_readfirstlane_b32 s98, v55                               // 000000002EDC: 7EC40537
	s_nop 3                                                    // 000000002EE0: BF800003

0000000000002ee4 <label_0039>:
	s_mov_b32 s4, 0                                            // 000000002EE4: BE840080
	v_cvt_f32_u32_e32 v52, s97                                 // 000000002EE8: 7E680C61
	s_sub_i32 s60, 0, s97                                      // 000000002EEC: 81BC6180
	v_rcp_iflag_f32_e32 v52, v52                               // 000000002EF0: 7E684734
	s_nop 0                                                    // 000000002EF4: BF800000
	v_mul_f32_e32 v52, 0x4f7ffffe, v52                         // 000000002EF8: 0A6868FF 4F7FFFFE
	v_cvt_u32_f32_e32 v52, v52                                 // 000000002F00: 7E680F34
	v_mul_lo_u32 v53, s60, v52                                 // 000000002F04: D2850035 0002683C
	v_mul_hi_u32 v53, v52, v53                                 // 000000002F0C: D2860035 00026B34
	v_add_u32_e32 v52, v52, v53                                // 000000002F14: 68686B34
	v_mul_hi_u32 v52, s99, v52                                 // 000000002F18: D2860034 00026863
	v_mul_lo_u32 v53, v52, s97                                 // 000000002F20: D2850035 0000C334
	v_sub_u32_e32 v55, s99, v53                                // 000000002F28: 6A6E6A63
	v_add_u32_e32 v54, 1, v52                                  // 000000002F2C: 686C6881
	v_cmp_le_u32_e32 vcc, s97, v55                             // 000000002F30: 7D966E61
	v_subrev_u32_e32 v53, s97, v55                             // 000000002F34: 6C6A6E61
	s_nop 0                                                    // 000000002F38: BF800000
	v_cndmask_b32_e32 v52, v52, v54, vcc                       // 000000002F3C: 00686D34
	v_cndmask_b32_e32 v55, v55, v53, vcc                       // 000000002F40: 006E6B37
	v_add_u32_e32 v53, 1, v52                                  // 000000002F44: 686A6881
	v_cmp_le_u32_e32 vcc, s97, v55                             // 000000002F48: 7D966E61
	s_nop 1                                                    // 000000002F4C: BF800001
	v_cndmask_b32_e32 v55, v52, v53, vcc                       // 000000002F50: 006E6B34
	s_nop 3                                                    // 000000002F54: BF800003
	v_readfirstlane_b32 s3, v55                                // 000000002F58: 7E060537
	s_nop 3                                                    // 000000002F5C: BF800003
	s_mul_i32 s60, s3, s97                                     // 000000002F60: 923C6103
	s_sub_u32 s2, s99, s60                                     // 000000002F64: 80823C63
	s_mul_i32 s60, s98, s100                                   // 000000002F68: 923C6462
	s_add_i32 s3, s3, s60                                      // 000000002F6C: 81033C03

0000000000002f70 <label_005C>:
	s_and_b32 s1, s1, 0xffff                                   // 000000002F70: 8601FF01 0000FFFF
	s_load_dwordx2 s[8:9], s[0:1], 0x0                         // 000000002F78: C0060200 00000000
	s_load_dwordx2 s[20:21], s[0:1], 0x10                      // 000000002F80: C0060500 00000010
	s_load_dwordx2 s[24:25], s[0:1], 0x20                      // 000000002F88: C0060600 00000020
	s_load_dwordx2 s[50:51], s[0:1], 0x30                      // 000000002F90: C0060C80 00000030
	s_load_dwordx2 s[12:13], s[0:1], 0x40                      // 000000002F98: C0060300 00000040
	s_load_dwordx2 s[28:29], s[0:1], 0x50                      // 000000002FA0: C0060700 00000050
	s_load_dwordx2 s[32:33], s[0:1], 0x60                      // 000000002FA8: C0060800 00000060
	s_load_dwordx2 s[16:17], s[0:1], 0x70                      // 000000002FB0: C0060400 00000070
	s_load_dwordx2 s[36:37], s[0:1], 0x80                      // 000000002FB8: C0060900 00000080
	s_load_dwordx2 s[44:45], s[0:1], 0x90                      // 000000002FC0: C0060B00 00000090
	s_load_dwordx2 s[40:41], s[0:1], 0xa0                      // 000000002FC8: C0060A00 000000A0
	s_load_dwordx2 s[46:47], s[0:1], 0xb0                      // 000000002FD0: C0060B80 000000B0
	s_load_dword s64, s[0:1], 0xc0                             // 000000002FD8: C0021000 000000C0
	s_load_dword s65, s[0:1], 0xd0                             // 000000002FE0: C0021040 000000D0
	s_load_dword s67, s[0:1], 0xf0                             // 000000002FE8: C00210C0 000000F0
	s_load_dword s68, s[0:1], 0x100                            // 000000002FF0: C0021100 00000100
	s_load_dword s69, s[0:1], 0x110                            // 000000002FF8: C0021140 00000110
	s_load_dword s70, s[0:1], 0x120                            // 000000003000: C0021180 00000120
	s_load_dword s71, s[0:1], 0x130                            // 000000003008: C00211C0 00000130
	s_load_dword s72, s[0:1], 0x140                            // 000000003010: C0021200 00000140
	s_load_dword s73, s[0:1], 0x150                            // 000000003018: C0021240 00000150
	s_load_dword s74, s[0:1], 0x160                            // 000000003020: C0021280 00000160
	s_load_dword s75, s[0:1], 0x170                            // 000000003028: C00212C0 00000170
	s_load_dword s76, s[0:1], 0x180                            // 000000003030: C0021300 00000180
	s_load_dword s63, s[0:1], 0x190                            // 000000003038: C0020FC0 00000190
	s_mov_b32 s2, s2                                           // 000000003040: BE820002
	s_mov_b32 s3, s3                                           // 000000003044: BE830003
	s_mov_b32 s4, s4                                           // 000000003048: BE840004
	s_waitcnt lgkmcnt(0)                                       // 00000000304C: BF8CC07F
	s_and_b32 s51, s51, 0xffff                                 // 000000003050: 8633FF33 0000FFFF
	s_load_dword s66, s[50:51], 0x4                            // 000000003058: C0021099 00000004
	s_load_dword s50, s[50:51], 0x0                            // 000000003060: C0020C99 00000000
	s_waitcnt lgkmcnt(0)                                       // 000000003068: BF8CC07F
	s_and_b32 s45, s45, 0xffff                                 // 00000000306C: 862DFF2D 0000FFFF
	s_and_b32 s47, s47, 0xffff                                 // 000000003074: 862FFF2F 0000FFFF
	s_and_b32 s9, s9, 0xffff                                   // 00000000307C: 8609FF09 0000FFFF
	s_mul_i32 s60, s66, s68                                    // 000000003084: 923C4442
	s_mul_i32 s60, s63, s60                                    // 000000003088: 923C3C3F
	s_mul_i32 s61, s66, 4                                      // 00000000308C: 923D8442
	s_mul_i32 s61, s63, s61                                    // 000000003090: 923D3D3F
	s_mov_b32 s22, s60                                         // 000000003094: BE96003C
	s_mov_b32 s26, -16                                         // 000000003098: BE9A00D0
	s_mov_b32 s14, -16                                         // 00000000309C: BE8E00D0
	s_mov_b32 s42, -16                                         // 0000000030A0: BEAA00D0
	s_mov_b32 s30, s61                                         // 0000000030A4: BE9E003D
	s_mov_b32 s34, 0x700                                       // 0000000030A8: BEA200FF 00000700
	s_mov_b32 s38, 0x700                                       // 0000000030B0: BEA600FF 00000700
	s_mov_b32 s18, -16                                         // 0000000030B8: BE9200D0
	s_mov_b32 s23, 0x20000                                     // 0000000030BC: BE9700FF 00020000
	s_mov_b32 s27, 0x20000                                     // 0000000030C4: BE9B00FF 00020000
	s_mov_b32 s15, 0x20000                                     // 0000000030CC: BE8F00FF 00020000
	s_mov_b32 s43, 0x20000                                     // 0000000030D4: BEAB00FF 00020000
	s_mov_b32 s31, 0x20000                                     // 0000000030DC: BE9F00FF 00020000
	s_mov_b32 s35, 0x20000                                     // 0000000030E4: BEA300FF 00020000
	s_mov_b32 s39, 0x20000                                     // 0000000030EC: BEA700FF 00020000
	s_mov_b32 s19, 0x20000                                     // 0000000030F4: BE9300FF 00020000
	s_and_b32 s21, s21, 0xffff                                 // 0000000030FC: 8615FF15 0000FFFF
	s_and_b32 s25, s25, 0xffff                                 // 000000003104: 8619FF19 0000FFFF
	s_and_b32 s13, s13, 0xffff                                 // 00000000310C: 860DFF0D 0000FFFF
	s_and_b32 s41, s41, 0xffff                                 // 000000003114: 8629FF29 0000FFFF
	s_and_b32 s29, s29, 0xffff                                 // 00000000311C: 861DFF1D 0000FFFF
	s_and_b32 s33, s33, 0xffff                                 // 000000003124: 8621FF21 0000FFFF
	s_and_b32 s37, s37, 0xffff                                 // 00000000312C: 8625FF25 0000FFFF
	s_and_b32 s17, s17, 0xffff                                 // 000000003134: 8611FF11 0000FFFF
	s_or_b32 s21, s21, 0x40000                                 // 00000000313C: 8715FF15 00040000
	s_or_b32 s25, s25, 0x40000                                 // 000000003144: 8719FF19 00040000
	s_or_b32 s13, s13, 0x40000                                 // 00000000314C: 870DFF0D 00040000
	s_or_b32 s41, s41, 0x40000                                 // 000000003154: 8729FF29 00040000
	s_or_b32 s29, s29, 0x40000                                 // 00000000315C: 871DFF1D 00040000
	s_or_b32 s33, s33, 0x40000                                 // 000000003164: 8721FF21 00040000
	s_or_b32 s37, s37, 0x40000                                 // 00000000316C: 8725FF25 00040000
	s_or_b32 s17, s17, 0x40000                                 // 000000003174: 8711FF11 00040000
	v_accvgpr_write_b32 a223, 0                                // 00000000317C: D3D940DF 18000080
	v_mov_b32_e32 v247, 0                                      // 000000003184: 7FEE0280
	s_waitcnt lgkmcnt(0)                                       // 000000003188: BF8CC07F
	s_mul_i32 s60, s3, 32                                      // 00000000318C: 923CA003
	s_cmp_lt_i32 s60, s50                                      // 000000003190: BF04323C
	s_cbranch_scc0 label_2634                                  // 000000003194: BF84254E
	s_mov_b32 s80, 0                                           // 000000003198: BED00080
	s_mov_b32 s81, s64                                         // 00000000319C: BED10040
	s_mul_i32 s60, s3, 4                                       // 0000000031A0: 923C8403
	s_add_u32 s46, s60, s46                                    // 0000000031A4: 802E2E3C
	s_addc_u32 s47, 0, s47                                     // 0000000031A8: 822F2F80
	s_load_dword s5, s[46:47], 0x0                             // 0000000031AC: C0020157 00000000
	s_mul_i32 s60, s3, 32                                      // 0000000031B4: 923CA003
	s_mul_i32 s60, 4, s60                                      // 0000000031B8: 923C3C84
	v_and_b32_e32 v52, 15, v0                                  // 0000000031BC: 2668008F
	v_lshlrev_b32_e32 v52, 2, v52                              // 0000000031C0: 24686882
	v_add_u32_e32 v52, s60, v52                                // 0000000031C4: 6868683C
	v_mov_b32_e32 v53, 0                                       // 0000000031C8: 7E6A0280
	global_load_dword v6, v52, s[44:45]                        // 0000000031CC: DC508000 062C0034
	v_add_u32_e32 v52, 64, v52                                 // 0000000031D4: 686868C0
	global_load_dword v7, v52, s[44:45]                        // 0000000031D8: DC508000 072C0034
	s_mul_i32 s60, s3, 32                                      // 0000000031E0: 923CA003
	s_add_u32 s60, s7, s60                                     // 0000000031E4: 803C3C07
	s_mul_i32 s60, 4, s60                                      // 0000000031E8: 923C3C84
	s_add_u32 s44, s60, s44                                    // 0000000031EC: 802C2C3C
	s_addc_u32 s45, 0, s45                                     // 0000000031F0: 822D2D80
	s_load_dword s82, s[44:45], 0x0                            // 0000000031F4: C0021496 00000000
	s_load_dword s83, s[44:45], 0x10                           // 0000000031FC: C00214D6 00000010
	s_load_dword s84, s[44:45], 0x20                           // 000000003204: C0021516 00000020
	s_load_dword s85, s[44:45], 0x30                           // 00000000320C: C0021556 00000030
	s_load_dword s86, s[44:45], 0x40                           // 000000003214: C0021596 00000040
	s_load_dword s87, s[44:45], 0x50                           // 00000000321C: C00215D6 00000050
	s_load_dword s88, s[44:45], 0x60                           // 000000003224: C0021616 00000060
	s_load_dword s89, s[44:45], 0x70                           // 00000000322C: C0021656 00000070
	s_waitcnt lgkmcnt(0)                                       // 000000003234: BF8CC07F
	v_lshlrev_b32_e32 v52, 2, v0                               // 000000003238: 24680082
	s_lshr_b32 s61, s82, 24                                    // 00000000323C: 8F3D9852
	s_mul_i32 s61, s61, s68                                    // 000000003240: 923D443D
	s_mul_i32 s61, s61, s66                                    // 000000003244: 923D423D
	s_and_b32 s82, s82, 0xffffff                               // 000000003248: 8652FF52 00FFFFFF
	s_mul_i32 s60, s82, s68                                    // 000000003250: 923C4452
	s_add_u32 s60, s61, s60                                    // 000000003254: 803C3C3D
	v_add_u32_e64 v26, v52, s60                                // 000000003258: D134001A 00007934
	s_lshr_b32 s61, s83, 24                                    // 000000003260: 8F3D9853
	s_mul_i32 s61, s61, s68                                    // 000000003264: 923D443D
	s_mul_i32 s61, s61, s66                                    // 000000003268: 923D423D
	s_and_b32 s83, s83, 0xffffff                               // 00000000326C: 8653FF53 00FFFFFF
	s_mul_i32 s60, s83, s68                                    // 000000003274: 923C4453
	s_add_u32 s60, s61, s60                                    // 000000003278: 803C3C3D
	v_add_u32_e64 v27, v52, s60                                // 00000000327C: D134001B 00007934
	s_lshr_b32 s61, s84, 24                                    // 000000003284: 8F3D9854
	s_mul_i32 s61, s61, s68                                    // 000000003288: 923D443D
	s_mul_i32 s61, s61, s66                                    // 00000000328C: 923D423D
	s_and_b32 s84, s84, 0xffffff                               // 000000003290: 8654FF54 00FFFFFF
	s_mul_i32 s60, s84, s68                                    // 000000003298: 923C4454
	s_add_u32 s60, s61, s60                                    // 00000000329C: 803C3C3D
	v_add_u32_e64 v28, v52, s60                                // 0000000032A0: D134001C 00007934
	s_lshr_b32 s61, s85, 24                                    // 0000000032A8: 8F3D9855
	s_mul_i32 s61, s61, s68                                    // 0000000032AC: 923D443D
	s_mul_i32 s61, s61, s66                                    // 0000000032B0: 923D423D
	s_and_b32 s85, s85, 0xffffff                               // 0000000032B4: 8655FF55 00FFFFFF
	s_mul_i32 s60, s85, s68                                    // 0000000032BC: 923C4455
	s_add_u32 s60, s61, s60                                    // 0000000032C0: 803C3C3D
	v_add_u32_e64 v29, v52, s60                                // 0000000032C4: D134001D 00007934
	s_lshr_b32 s61, s86, 24                                    // 0000000032CC: 8F3D9856
	s_mul_i32 s61, s61, s68                                    // 0000000032D0: 923D443D
	s_mul_i32 s61, s61, s66                                    // 0000000032D4: 923D423D
	s_and_b32 s86, s86, 0xffffff                               // 0000000032D8: 8656FF56 00FFFFFF
	s_mul_i32 s60, s86, s68                                    // 0000000032E0: 923C4456
	s_add_u32 s60, s61, s60                                    // 0000000032E4: 803C3C3D
	v_add_u32_e64 v30, v52, s60                                // 0000000032E8: D134001E 00007934
	s_lshr_b32 s61, s87, 24                                    // 0000000032F0: 8F3D9857
	s_mul_i32 s61, s61, s68                                    // 0000000032F4: 923D443D
	s_mul_i32 s61, s61, s66                                    // 0000000032F8: 923D423D
	s_and_b32 s87, s87, 0xffffff                               // 0000000032FC: 8657FF57 00FFFFFF
	s_mul_i32 s60, s87, s68                                    // 000000003304: 923C4457
	s_add_u32 s60, s61, s60                                    // 000000003308: 803C3C3D
	v_add_u32_e64 v31, v52, s60                                // 00000000330C: D134001F 00007934
	s_lshr_b32 s61, s88, 24                                    // 000000003314: 8F3D9858
	s_mul_i32 s61, s61, s68                                    // 000000003318: 923D443D
	s_mul_i32 s61, s61, s66                                    // 00000000331C: 923D423D
	s_and_b32 s88, s88, 0xffffff                               // 000000003320: 8658FF58 00FFFFFF
	s_mul_i32 s60, s88, s68                                    // 000000003328: 923C4458
	s_add_u32 s60, s61, s60                                    // 00000000332C: 803C3C3D
	v_add_u32_e64 v32, v52, s60                                // 000000003330: D1340020 00007934
	s_lshr_b32 s61, s89, 24                                    // 000000003338: 8F3D9859
	s_mul_i32 s61, s61, s68                                    // 00000000333C: 923D443D
	s_mul_i32 s61, s61, s66                                    // 000000003340: 923D423D
	s_and_b32 s89, s89, 0xffffff                               // 000000003344: 8659FF59 00FFFFFF
	s_mul_i32 s60, s89, s68                                    // 00000000334C: 923C4459
	s_add_u32 s60, s61, s60                                    // 000000003350: 803C3C3D
	v_add_u32_e64 v33, v52, s60                                // 000000003354: D1340021 00007934
	v_lshlrev_b32_e32 v52, 2, v0                               // 00000000335C: 24680082
	s_mul_i32 s60, s82, s71                                    // 000000003360: 923C4752
	v_add_u32_e64 v80, v52, s60                                // 000000003364: D1340050 00007934
	v_mov_b32_e32 v81, 0                                       // 00000000336C: 7EA20280
	s_mul_i32 s60, s83, s71                                    // 000000003370: 923C4753
	v_add_u32_e64 v82, v52, s60                                // 000000003374: D1340052 00007934
	v_mov_b32_e32 v83, 0                                       // 00000000337C: 7EA60280
	s_mul_i32 s60, s84, s71                                    // 000000003380: 923C4754
	v_add_u32_e64 v84, v52, s60                                // 000000003384: D1340054 00007934
	v_mov_b32_e32 v85, 0                                       // 00000000338C: 7EAA0280
	s_mul_i32 s60, s85, s71                                    // 000000003390: 923C4755
	v_add_u32_e64 v86, v52, s60                                // 000000003394: D1340056 00007934
	v_mov_b32_e32 v87, 0                                       // 00000000339C: 7EAE0280
	s_mul_i32 s60, s86, s71                                    // 0000000033A0: 923C4756
	v_add_u32_e64 v88, v52, s60                                // 0000000033A4: D1340058 00007934
	v_mov_b32_e32 v89, 0                                       // 0000000033AC: 7EB20280
	s_mul_i32 s60, s87, s71                                    // 0000000033B0: 923C4757
	v_add_u32_e64 v90, v52, s60                                // 0000000033B4: D134005A 00007934
	v_mov_b32_e32 v91, 0                                       // 0000000033BC: 7EB60280
	s_mul_i32 s60, s88, s71                                    // 0000000033C0: 923C4758
	v_add_u32_e64 v92, v52, s60                                // 0000000033C4: D134005C 00007934
	v_mov_b32_e32 v93, 0                                       // 0000000033CC: 7EBA0280
	s_mul_i32 s60, s89, s71                                    // 0000000033D0: 923C4759
	v_add_u32_e64 v94, v52, s60                                // 0000000033D4: D134005E 00007934
	v_mov_b32_e32 v95, 0                                       // 0000000033DC: 7EBE0280
	s_mul_i32 s60, s7, 0x820                                   // 0000000033E0: 923CFF07 00000820
	s_add_u32 s50, 0, s60                                      // 0000000033E8: 80323C80
	s_add_u32 s51, 0x2080, s50                                 // 0000000033EC: 803332FF 00002080
	v_lshrrev_b32_e32 v52, 4, v0                               // 0000000033F4: 20680084
	v_lshlrev_b32_e32 v53, 2, v52                              // 0000000033F8: 246A6882
	v_and_b32_e32 v52, 15, v0                                  // 0000000033FC: 2668008F
	v_lshrrev_b32_e32 v54, 2, v52                              // 000000003400: 206C6882
	v_lshlrev_b32_e32 v54, 6, v54                              // 000000003404: 246C6C86
	v_add_u32_e32 v53, v54, v53                                // 000000003408: 686A6B36
	v_and_b32_e32 v52, 3, v0                                   // 00000000340C: 26680083
	v_mul_i32_i24_e32 v54, 0x208, v52                          // 000000003410: 0C6C68FF 00000208
	v_add_u32_e32 v53, v54, v53                                // 000000003418: 686A6B36
	v_lshlrev_b32_e32 v2, 2, v53                               // 00000000341C: 24046A82
	s_mul_i32 s60, s2, 0x1c0                                   // 000000003420: 923CFF02 000001C0
	s_mul_i32 s60, s60, s69                                    // 000000003428: 923C453C
	s_mul_i32 s61, s5, s72                                     // 00000000342C: 923D4805
	s_add_u32 s60, s61, s60                                    // 000000003430: 803C3C3D
	s_add_u32 s24, s60, s24                                    // 000000003434: 8018183C
	s_addc_u32 s25, 0, s25                                     // 000000003438: 82191980
	s_mul_i32 s60, s7, 16                                      // 00000000343C: 923C9007
	s_mul_i32 s60, s60, s69                                    // 000000003440: 923C453C
	v_lshlrev_b32_e32 v34, 4, v0                               // 000000003444: 24440084
	v_add_u32_e32 v34, s60, v34                                // 000000003448: 6844443C
	s_mul_i32 s60, 64, s69                                     // 00000000344C: 923C45C0
	v_add_u32_e32 v35, s60, v34                                // 000000003450: 6846443C
	v_add_u32_e32 v36, s60, v35                                // 000000003454: 6848463C
	v_add_u32_e32 v37, s60, v36                                // 000000003458: 684A483C
	v_add_u32_e32 v38, s60, v37                                // 00000000345C: 684C4A3C
	v_add_u32_e32 v39, s60, v38                                // 000000003460: 684E4C3C
	v_add_u32_e32 v40, s60, v39                                // 000000003464: 68504E3C
	s_mov_b32 s92, s24                                         // 000000003468: BEDC0018
	s_mov_b32 s93, s25                                         // 00000000346C: BEDD0019
	s_mov_b32 s94, s26                                         // 000000003470: BEDE001A
	s_mov_b32 s95, s27                                         // 000000003474: BEDF001B
	s_mul_i32 s60, s69, s65                                    // 000000003478: 923C4145
	s_add_u32 s92, s60, s92                                    // 00000000347C: 805C5C3C
	s_addc_u32 s93, 0, s93                                     // 000000003480: 825D5D80
	s_mul_i32 s60, s2, 0x1c00                                  // 000000003484: 923CFF02 00001C00
	s_mul_i32 s61, s5, s73                                     // 00000000348C: 923D4905
	s_add_u32 s60, s61, s60                                    // 000000003490: 803C3C3D
	s_add_u32 s12, s60, s12                                    // 000000003494: 800C0C3C
	s_addc_u32 s13, 0, s13                                     // 000000003498: 820D0D80
	s_mul_i32 s60, s7, 16                                      // 00000000349C: 923C9007
	s_mul_i32 s60, s60, s70                                    // 0000000034A0: 923C463C
	v_lshlrev_b32_e32 v41, 4, v0                               // 0000000034A4: 24520084
	v_add_u32_e32 v41, s60, v41                                // 0000000034A8: 6852523C
	s_mul_i32 s60, 64, s70                                     // 0000000034AC: 923C46C0
	v_add_u32_e32 v42, s60, v41                                // 0000000034B0: 6854523C
	v_add_u32_e32 v43, s60, v42                                // 0000000034B4: 6856543C
	v_add_u32_e32 v44, s60, v43                                // 0000000034B8: 6858563C
	s_mul_i32 s60, s70, 0x100                                  // 0000000034BC: 923CFF46 00000100
	s_mov_b32 s78, 0x400                                       // 0000000034C4: BECE00FF 00000400
	s_mul_i32 s61, s78, 6                                      // 0000000034CC: 923D864E
	s_sub_u32 s56, s60, s61                                    // 0000000034D0: 80B83D3C
	s_mul_i32 s60, s3, 32                                      // 0000000034D4: 923CA003
	s_mul_i32 s60, 4, s60                                      // 0000000034D8: 923C3C84
	s_add_u32 s40, s60, s40                                    // 0000000034DC: 8028283C
	s_addc_u32 s41, 0, s41                                     // 0000000034E0: 82292980
	v_and_b32_e32 v52, 15, v0                                  // 0000000034E4: 2668008F
	v_lshlrev_b32_e32 v8, 2, v52                               // 0000000034E8: 24106882
	v_add_u32_e32 v9, 64, v8                                   // 0000000034EC: 681210C0
	v_lshrrev_b32_e32 v52, 4, v0                               // 0000000034F0: 20680084
	v_lshlrev_b32_e32 v53, 2, v52                              // 0000000034F4: 246A6882
	v_and_b32_e32 v52, 15, v0                                  // 0000000034F8: 2668008F
	v_lshrrev_b32_e32 v54, 2, v52                              // 0000000034FC: 206C6882
	v_lshlrev_b32_e32 v54, 6, v54                              // 000000003500: 246C6C86
	v_add_u32_e32 v53, v54, v53                                // 000000003504: 686A6B36
	v_and_b32_e32 v52, 3, v0                                   // 000000003508: 26680083
	v_add_u32_e32 v53, v52, v53                                // 00000000350C: 686A6B34
	v_lshlrev_b32_e32 v10, 2, v53                              // 000000003510: 24146A82
	v_add_u32_e32 v11, 0x400, v10                              // 000000003514: 681614FF 00000400
	s_mul_i32 s60, s7, 16                                      // 00000000351C: 923C9007
	s_mul_i32 s60, s60, 4                                      // 000000003520: 923C843C
	v_add_u32_e32 v10, s60, v10                                // 000000003524: 6814143C
	v_add_u32_e32 v11, s60, v11                                // 000000003528: 6816163C
	v_mov_b32_e32 v5, v10                                      // 00000000352C: 7E0A030A
	s_mul_i32 s60, s2, 0x1c0                                   // 000000003530: 923CFF02 000001C0
	s_mul_i32 s60, s60, 4                                      // 000000003538: 923C843C
	s_mul_i32 s61, s5, s74                                     // 00000000353C: 923D4A05
	s_add_u32 s61, s61, s60                                    // 000000003540: 803D3C3D
	s_mul_i32 s62, s5, s76                                     // 000000003544: 923E4C05
	s_add_u32 s62, s62, s60                                    // 000000003548: 803E3C3E
	s_add_u32 s32, s61, s32                                    // 00000000354C: 8020203D
	s_addc_u32 s33, 0, s33                                     // 000000003550: 82212180
	s_add_u32 s36, s62, s36                                    // 000000003554: 8024243E
	s_addc_u32 s37, 0, s37                                     // 000000003558: 82252580
	s_mul_i32 s60, s5, s75                                     // 00000000355C: 923C4B05
	s_add_u32 s16, s60, s16                                    // 000000003560: 8010103C
	s_addc_u32 s17, 0, s17                                     // 000000003564: 82111180
	s_mov_b32 s57, 0x100                                       // 000000003568: BEB900FF 00000100
	s_mov_b32 s58, 0x1000                                      // 000000003570: BEBA00FF 00001000
	s_mov_b32 s79, 0x400                                       // 000000003578: BECF00FF 00000400
	s_mov_b32 s59, 0x200                                       // 000000003580: BEBB00FF 00000200
	s_mov_b32 s90, s58                                         // 000000003588: BEDA003A
	s_mov_b32 s52, 0x7060302                                   // 00000000358C: BEB400FF 07060302
	s_mov_b32 s53, 0x400                                       // 000000003594: BEB500FF 00000400
	s_mov_b32 s54, 0x40100                                     // 00000000359C: BEB600FF 00040100
	s_mov_b32 s55, 0x4020100                                   // 0000000035A4: BEB700FF 04020100
	s_mov_b32 s6, 0x3fb8aa3b                                   // 0000000035AC: BE8600FF 3FB8AA3B
	s_mov_b32 s77, 0xbd92220c                                  // 0000000035B4: BECD00FF BD92220C
	s_mov_b32 m0, s50                                          // 0000000035BC: BEFC0032
	v_mov_b32_e32 v1, 0xbfcc4231                               // 0000000035C0: 7E0202FF BFCC4231
	v_mov_b32_e32 v46, 0xffff0000                              // 0000000035C8: 7E5C02FF FFFF0000
	v_mov_b32_e32 v47, 0x7fff0000                              // 0000000035D0: 7E5E02FF 7FFF0000
	v_mov_b32_e32 v48, 0x7fff                                  // 0000000035D8: 7E6002FF 00007FFF
	s_waitcnt vmcnt(0) expcnt(0) lgkmcnt(0)                    // 0000000035E0: BF8C0000
	v_lshrrev_b32_e32 v52, 24, v6                              // 0000000035E4: 20680C98
	v_mul_i32_i24_e32 v52, s66, v52                            // 0000000035E8: 0C686842
	v_and_b32_e32 v53, 0xffffff, v6                            // 0000000035EC: 266A0CFF 00FFFFFF
	v_add_u32_e32 v6, v52, v53                                 // 0000000035F4: 680C6B34
	v_lshrrev_b32_e32 v52, 24, v7                              // 0000000035F8: 20680E98
	v_mul_i32_i24_e32 v52, s66, v52                            // 0000000035FC: 0C686842
	v_and_b32_e32 v53, 0xffffff, v7                            // 000000003600: 266A0EFF 00FFFFFF
	v_add_u32_e32 v7, v52, v53                                 // 000000003608: 680E6B34
	v_lshlrev_b32_e32 v6, 2, v6                                // 00000000360C: 240C0C82
	v_lshlrev_b32_e32 v7, 2, v7                                // 000000003610: 240E0E82
	buffer_load_dword v14, v6, s[28:31], 0 offen               // 000000003614: E0501000 80070E06
	buffer_load_dword v15, v7, s[28:31], 0 offen               // 00000000361C: E0501000 80070F07
	buffer_load_dword v16, v10, s[32:35], 0 offen              // 000000003624: E0501000 8008100A
	buffer_load_dword v17, v11, s[32:35], 0 offen              // 00000000362C: E0501000 8008110B
	s_mul_i32 s60, 4, s65                                      // 000000003634: 923C4184
	s_add_u32 s32, s60, s32                                    // 000000003638: 8020203C
	s_addc_u32 s33, 0, s33                                     // 00000000363C: 82212180
	buffer_load_dword v49, v10, s[32:35], 0 offen              // 000000003640: E0501000 8008310A
	buffer_load_dword v50, v11, s[32:35], 0 offen              // 000000003648: E0501000 8008320B
	buffer_load_dword v18, v10, s[36:39], 0 offen              // 000000003650: E0501000 8009120A
	buffer_load_dword v19, v11, s[36:39], 0 offen              // 000000003658: E0501000 8009130B
	buffer_load_dword v20, v8, s[40:43], 0 offen               // 000000003660: E0501000 800A1408
	buffer_load_dword v21, v9, s[40:43], 0 offen               // 000000003668: E0501000 800A1509
	buffer_load_dword v26, s[20:23], 0 offen lds               // 000000003670: E0511000 8005001A
	s_add_u32 m0, 0x100, s50                                   // 000000003678: 807C32FF 00000100
	buffer_load_dword v27, s[20:23], 0 offen lds               // 000000003680: E0511000 8005001B
	s_add_u32 m0, 0x200, s50                                   // 000000003688: 807C32FF 00000200
	buffer_load_dword v28, s[20:23], 0 offen lds               // 000000003690: E0511000 8005001C
	s_add_u32 m0, 0x300, s50                                   // 000000003698: 807C32FF 00000300
	buffer_load_dword v29, s[20:23], 0 offen lds               // 0000000036A0: E0511000 8005001D
	s_add_u32 m0, 0x400, s50                                   // 0000000036A8: 807C32FF 00000400
	buffer_load_dword v30, s[20:23], 0 offen lds               // 0000000036B0: E0511000 8005001E
	s_add_u32 m0, 0x500, s50                                   // 0000000036B8: 807C32FF 00000500
	buffer_load_dword v31, s[20:23], 0 offen lds               // 0000000036C0: E0511000 8005001F
	s_add_u32 m0, 0x600, s50                                   // 0000000036C8: 807C32FF 00000600
	buffer_load_dword v32, s[20:23], 0 offen lds               // 0000000036D0: E0511000 80050020
	s_add_u32 m0, 0x700, s50                                   // 0000000036D8: 807C32FF 00000700
	buffer_load_dword v33, s[20:23], 0 offen lds               // 0000000036E0: E0511000 80050021
	s_add_u32 m0, 0, s51                                       // 0000000036E8: 807C3380
	s_add_u32 s20, s57, s20                                    // 0000000036EC: 80141439
	s_addc_u32 s21, 0, s21                                     // 0000000036F0: 82151580
	buffer_load_dwordx4 a[0:3], v34, s[24:27], 0 offen         // 0000000036F4: E05C1000 80860022
	buffer_load_dwordx4 a[4:7], v34, s[24:27], 0 offen offset:1024// 0000000036FC: E05C1400 80860422
	buffer_load_dwordx4 a[8:11], v34, s[24:27], 0 offen offset:2048// 000000003704: E05C1800 80860822
	buffer_load_dwordx4 a[12:15], v34, s[24:27], 0 offen offset:3072// 00000000370C: E05C1C00 80860C22
	buffer_load_dwordx4 a[16:19], v35, s[24:27], 0 offen       // 000000003714: E05C1000 80861023
	buffer_load_dwordx4 a[20:23], v35, s[24:27], 0 offen offset:1024// 00000000371C: E05C1400 80861423
	buffer_load_dwordx4 a[24:27], v35, s[24:27], 0 offen offset:2048// 000000003724: E05C1800 80861823
	buffer_load_dwordx4 a[28:31], v35, s[24:27], 0 offen offset:3072// 00000000372C: E05C1C00 80861C23
	buffer_load_dwordx4 a[32:35], v36, s[24:27], 0 offen       // 000000003734: E05C1000 80862024
	buffer_load_dwordx4 a[36:39], v36, s[24:27], 0 offen offset:1024// 00000000373C: E05C1400 80862424
	buffer_load_dwordx4 a[40:43], v36, s[24:27], 0 offen offset:2048// 000000003744: E05C1800 80862824
	buffer_load_dwordx4 a[44:47], v36, s[24:27], 0 offen offset:3072// 00000000374C: E05C1C00 80862C24
	buffer_load_dwordx4 a[48:51], v37, s[24:27], 0 offen       // 000000003754: E05C1000 80863025
	buffer_load_dwordx4 a[52:55], v37, s[24:27], 0 offen offset:1024// 00000000375C: E05C1400 80863425
	buffer_load_dwordx4 a[56:59], v37, s[24:27], 0 offen offset:2048// 000000003764: E05C1800 80863825
	buffer_load_dwordx4 a[60:63], v37, s[24:27], 0 offen offset:3072// 00000000376C: E05C1C00 80863C25
	buffer_load_dwordx4 a[64:67], v38, s[24:27], 0 offen       // 000000003774: E05C1000 80864026
	buffer_load_dwordx4 a[68:71], v38, s[24:27], 0 offen offset:1024// 00000000377C: E05C1400 80864426
	buffer_load_dwordx4 a[72:75], v38, s[24:27], 0 offen offset:2048// 000000003784: E05C1800 80864826
	buffer_load_dwordx4 a[76:79], v38, s[24:27], 0 offen offset:3072// 00000000378C: E05C1C00 80864C26
	buffer_load_dwordx4 a[80:83], v39, s[24:27], 0 offen       // 000000003794: E05C1000 80865027
	buffer_load_dwordx4 a[84:87], v39, s[24:27], 0 offen offset:1024// 00000000379C: E05C1400 80865427
	buffer_load_dwordx4 a[88:91], v39, s[24:27], 0 offen offset:2048// 0000000037A4: E05C1800 80865827
	buffer_load_dwordx4 a[92:95], v39, s[24:27], 0 offen offset:3072// 0000000037AC: E05C1C00 80865C27
	buffer_load_dwordx4 a[96:99], v40, s[24:27], 0 offen       // 0000000037B4: E05C1000 80866028
	buffer_load_dwordx4 a[100:103], v40, s[24:27], 0 offen offset:1024// 0000000037BC: E05C1400 80866428
	buffer_load_dwordx4 a[104:107], v40, s[24:27], 0 offen offset:2048// 0000000037C4: E05C1800 80866828
	buffer_load_dwordx4 a[108:111], v40, s[24:27], 0 offen offset:3072// 0000000037CC: E05C1C00 80866C28
	s_add_u32 s24, s58, s24                                    // 0000000037D4: 8018183A
	s_addc_u32 s25, 0, s25                                     // 0000000037D8: 82191980
	v_mov_b32_e32 v128, 0                                      // 0000000037DC: 7F000280
	v_mov_b32_e32 v64, 0                                       // 0000000037E0: 7E800280
	v_mov_b32_e32 v129, 0                                      // 0000000037E4: 7F020280
	v_mov_b32_e32 v65, 0                                       // 0000000037E8: 7E820280
	v_mov_b32_e32 v130, 0                                      // 0000000037EC: 7F040280
	v_mov_b32_e32 v66, 0                                       // 0000000037F0: 7E840280
	v_mov_b32_e32 v131, 0                                      // 0000000037F4: 7F060280
	v_mov_b32_e32 v67, 0                                       // 0000000037F8: 7E860280
	v_mov_b32_e32 v132, 0                                      // 0000000037FC: 7F080280
	v_mov_b32_e32 v68, 0                                       // 000000003800: 7E880280
	v_mov_b32_e32 v133, 0                                      // 000000003804: 7F0A0280
	v_mov_b32_e32 v69, 0                                       // 000000003808: 7E8A0280
	v_mov_b32_e32 v134, 0                                      // 00000000380C: 7F0C0280
	v_mov_b32_e32 v70, 0                                       // 000000003810: 7E8C0280
	v_mov_b32_e32 v135, 0                                      // 000000003814: 7F0E0280
	v_mov_b32_e32 v71, 0                                       // 000000003818: 7E8E0280
	v_mov_b32_e32 v136, 0                                      // 00000000381C: 7F100280
	v_mov_b32_e32 v72, 0                                       // 000000003820: 7E900280
	v_mov_b32_e32 v137, 0                                      // 000000003824: 7F120280
	v_mov_b32_e32 v73, 0                                       // 000000003828: 7E920280
	v_mov_b32_e32 v138, 0                                      // 00000000382C: 7F140280
	v_mov_b32_e32 v74, 0                                       // 000000003830: 7E940280
	v_mov_b32_e32 v139, 0                                      // 000000003834: 7F160280
	v_mov_b32_e32 v75, 0                                       // 000000003838: 7E960280
	v_mov_b32_e32 v140, 0                                      // 00000000383C: 7F180280
	v_mov_b32_e32 v76, 0                                       // 000000003840: 7E980280
	v_mov_b32_e32 v141, 0                                      // 000000003844: 7F1A0280
	v_mov_b32_e32 v77, 0                                       // 000000003848: 7E9A0280
	v_mov_b32_e32 v142, 0                                      // 00000000384C: 7F1C0280
	v_mov_b32_e32 v78, 0                                       // 000000003850: 7E9C0280
	v_mov_b32_e32 v143, 0                                      // 000000003854: 7F1E0280
	v_mov_b32_e32 v79, 0                                       // 000000003858: 7E9E0280
	v_mov_b32_e32 v144, 0                                      // 00000000385C: 7F200280
	v_mov_b32_e32 v80, 0                                       // 000000003860: 7EA00280
	v_mov_b32_e32 v145, 0                                      // 000000003864: 7F220280
	v_mov_b32_e32 v81, 0                                       // 000000003868: 7EA20280
	v_mov_b32_e32 v146, 0                                      // 00000000386C: 7F240280
	v_mov_b32_e32 v82, 0                                       // 000000003870: 7EA40280
	v_mov_b32_e32 v147, 0                                      // 000000003874: 7F260280
	v_mov_b32_e32 v83, 0                                       // 000000003878: 7EA60280
	v_mov_b32_e32 v148, 0                                      // 00000000387C: 7F280280
	v_mov_b32_e32 v84, 0                                       // 000000003880: 7EA80280
	v_mov_b32_e32 v149, 0                                      // 000000003884: 7F2A0280
	v_mov_b32_e32 v85, 0                                       // 000000003888: 7EAA0280
	v_mov_b32_e32 v150, 0                                      // 00000000388C: 7F2C0280
	v_mov_b32_e32 v86, 0                                       // 000000003890: 7EAC0280
	v_mov_b32_e32 v151, 0                                      // 000000003894: 7F2E0280
	v_mov_b32_e32 v87, 0                                       // 000000003898: 7EAE0280
	v_mov_b32_e32 v152, 0                                      // 00000000389C: 7F300280
	v_mov_b32_e32 v88, 0                                       // 0000000038A0: 7EB00280
	v_mov_b32_e32 v153, 0                                      // 0000000038A4: 7F320280
	v_mov_b32_e32 v89, 0                                       // 0000000038A8: 7EB20280
	v_mov_b32_e32 v154, 0                                      // 0000000038AC: 7F340280
	v_mov_b32_e32 v90, 0                                       // 0000000038B0: 7EB40280
	v_mov_b32_e32 v155, 0                                      // 0000000038B4: 7F360280
	v_mov_b32_e32 v91, 0                                       // 0000000038B8: 7EB60280
	v_mov_b32_e32 v156, 0                                      // 0000000038BC: 7F380280
	v_mov_b32_e32 v92, 0                                       // 0000000038C0: 7EB80280
	v_mov_b32_e32 v157, 0                                      // 0000000038C4: 7F3A0280
	v_mov_b32_e32 v93, 0                                       // 0000000038C8: 7EBA0280
	v_mov_b32_e32 v158, 0                                      // 0000000038CC: 7F3C0280
	v_mov_b32_e32 v94, 0                                       // 0000000038D0: 7EBC0280
	v_mov_b32_e32 v159, 0                                      // 0000000038D4: 7F3E0280
	v_mov_b32_e32 v95, 0                                       // 0000000038D8: 7EBE0280
	v_mov_b32_e32 v160, 0                                      // 0000000038DC: 7F400280
	v_mov_b32_e32 v96, 0                                       // 0000000038E0: 7EC00280
	v_mov_b32_e32 v161, 0                                      // 0000000038E4: 7F420280
	v_mov_b32_e32 v97, 0                                       // 0000000038E8: 7EC20280
	v_mov_b32_e32 v162, 0                                      // 0000000038EC: 7F440280
	v_mov_b32_e32 v98, 0                                       // 0000000038F0: 7EC40280
	v_mov_b32_e32 v163, 0                                      // 0000000038F4: 7F460280
	v_mov_b32_e32 v99, 0                                       // 0000000038F8: 7EC60280
	v_mov_b32_e32 v164, 0                                      // 0000000038FC: 7F480280
	v_mov_b32_e32 v100, 0                                      // 000000003900: 7EC80280
	v_mov_b32_e32 v165, 0                                      // 000000003904: 7F4A0280
	v_mov_b32_e32 v101, 0                                      // 000000003908: 7ECA0280
	v_mov_b32_e32 v166, 0                                      // 00000000390C: 7F4C0280
	v_mov_b32_e32 v102, 0                                      // 000000003910: 7ECC0280
	v_mov_b32_e32 v167, 0                                      // 000000003914: 7F4E0280
	v_mov_b32_e32 v103, 0                                      // 000000003918: 7ECE0280
	v_mov_b32_e32 v168, 0                                      // 00000000391C: 7F500280
	v_mov_b32_e32 v104, 0                                      // 000000003920: 7ED00280
	v_mov_b32_e32 v169, 0                                      // 000000003924: 7F520280
	v_mov_b32_e32 v105, 0                                      // 000000003928: 7ED20280
	v_mov_b32_e32 v170, 0                                      // 00000000392C: 7F540280
	v_mov_b32_e32 v106, 0                                      // 000000003930: 7ED40280
	v_mov_b32_e32 v171, 0                                      // 000000003934: 7F560280
	v_mov_b32_e32 v107, 0                                      // 000000003938: 7ED60280
	v_mov_b32_e32 v172, 0                                      // 00000000393C: 7F580280
	v_mov_b32_e32 v108, 0                                      // 000000003940: 7ED80280
	v_mov_b32_e32 v173, 0                                      // 000000003944: 7F5A0280
	v_mov_b32_e32 v109, 0                                      // 000000003948: 7EDA0280
	v_mov_b32_e32 v174, 0                                      // 00000000394C: 7F5C0280
	v_mov_b32_e32 v110, 0                                      // 000000003950: 7EDC0280
	v_mov_b32_e32 v175, 0                                      // 000000003954: 7F5E0280
	v_mov_b32_e32 v111, 0                                      // 000000003958: 7EDE0280
	v_mov_b32_e32 v176, 0                                      // 00000000395C: 7F600280
	v_mov_b32_e32 v112, 0                                      // 000000003960: 7EE00280
	v_mov_b32_e32 v177, 0                                      // 000000003964: 7F620280
	v_mov_b32_e32 v113, 0                                      // 000000003968: 7EE20280
	v_mov_b32_e32 v178, 0                                      // 00000000396C: 7F640280
	v_mov_b32_e32 v114, 0                                      // 000000003970: 7EE40280
	v_mov_b32_e32 v179, 0                                      // 000000003974: 7F660280
	v_mov_b32_e32 v115, 0                                      // 000000003978: 7EE60280
	v_mov_b32_e32 v180, 0                                      // 00000000397C: 7F680280
	v_mov_b32_e32 v116, 0                                      // 000000003980: 7EE80280
	v_mov_b32_e32 v181, 0                                      // 000000003984: 7F6A0280
	v_mov_b32_e32 v117, 0                                      // 000000003988: 7EEA0280
	v_mov_b32_e32 v182, 0                                      // 00000000398C: 7F6C0280
	v_mov_b32_e32 v118, 0                                      // 000000003990: 7EEC0280
	v_mov_b32_e32 v183, 0                                      // 000000003994: 7F6E0280
	v_mov_b32_e32 v119, 0                                      // 000000003998: 7EEE0280
	v_lshrrev_b32_e32 v52, 4, v0                               // 00000000399C: 20680084
	v_mul_i32_i24_e32 v3, 34, v52                              // 0000000039A0: 0C0668A2
	v_and_b32_e32 v52, 15, v0                                  // 0000000039A4: 2668008F
	v_mul_i32_i24_e32 v53, 2, v52                              // 0000000039A8: 0C6A6882
	v_add_u32_e32 v3, v53, v3                                  // 0000000039AC: 68060735
	s_mul_i32 s60, s7, 0x88                                    // 0000000039B0: 923CFF07 00000088
	v_add_u32_e32 v3, s60, v3                                  // 0000000039B8: 6806063C
	v_lshlrev_b32_e32 v3, 2, v3                                // 0000000039BC: 24060682
	v_lshrrev_b32_e32 v52, 1, v0                               // 0000000039C0: 20680081
	v_mul_i32_i24_e32 v4, 34, v52                              // 0000000039C4: 0C0868A2
	v_and_b32_e32 v53, 1, v0                                   // 0000000039C8: 266A0081
	v_add_u32_e32 v4, v53, v4                                  // 0000000039CC: 68080935
	s_mul_i32 s60, s7, 2                                       // 0000000039D0: 923C8207
	v_add_u32_e32 v4, s60, v4                                  // 0000000039D4: 6808083C
	v_lshlrev_b32_e32 v4, 2, v4                                // 0000000039D8: 24080882
	s_waitcnt vmcnt(28)                                        // 0000000039DC: BF8C4F7C
	s_barrier                                                  // 0000000039E0: BF8A0000
	ds_read_b128 v[184:187], v2                                // 0000000039E4: D9FE0000 B8000002
	ds_read_b128 v[188:191], v2 offset:64                      // 0000000039EC: D9FE0040 BC000002
	ds_read_b128 v[192:195], v2 offset:128                     // 0000000039F4: D9FE0080 C0000002
	ds_read_b128 v[196:199], v2 offset:192                     // 0000000039FC: D9FE00C0 C4000002
	ds_read_b128 v[200:203], v2 offset:1024                    // 000000003A04: D9FE0400 C8000002
	ds_read_b128 v[204:207], v2 offset:1088                    // 000000003A0C: D9FE0440 CC000002
	ds_read_b128 v[208:211], v2 offset:1152                    // 000000003A14: D9FE0480 D0000002
	ds_read_b128 v[212:215], v2 offset:1216                    // 000000003A1C: D9FE04C0 D4000002
	s_cmp_lt_i32 s7, 2                                         // 000000003A24: BF048207
	s_cbranch_scc0 label_149F                                  // 000000003A28: BF841194

0000000000003a2c <label_030B>:
	s_waitcnt vmcnt(20) lgkmcnt(0)                             // 000000003A2C: BF8C4074
	s_barrier                                                  // 000000003A30: BF8A0000
	v_mfma_i32_16x16x32_i8 v[128:131], a[0:1], v[184:185], v[128:131]// 000000003A34: D3D70080 0E037100
	v_mfma_i32_16x16x32_i8 v[128:131], a[2:3], v[186:187], v[128:131]// 000000003A3C: D3D70080 0E037502
	buffer_load_dwordx4 a[112:115], v34, s[92:95], 0 offen     // 000000003A44: E05C1000 80977022
	v_mfma_i32_16x16x32_i8 v[128:131], a[4:5], v[188:189], v[128:131]// 000000003A4C: D3D70080 0E037904
	v_mfma_i32_16x16x32_i8 v[128:131], a[6:7], v[190:191], v[128:131]// 000000003A54: D3D70080 0E037D06
	buffer_load_dword v26, s[20:23], 0 offen lds               // 000000003A5C: E0511000 8005001A
	s_add_u32 m0, 0x100, s51                                   // 000000003A64: 807C33FF 00000100
	v_mfma_i32_16x16x32_i8 v[128:131], a[8:9], v[192:193], v[128:131]// 000000003A6C: D3D70080 0E038108
	v_mfma_i32_16x16x32_i8 v[128:131], a[10:11], v[194:195], v[128:131]// 000000003A74: D3D70080 0E03850A
	buffer_load_dwordx4 a[116:119], v34, s[92:95], 0 offen offset:1024// 000000003A7C: E05C1400 80977422
	v_mfma_i32_16x16x32_i8 v[128:131], a[12:13], v[196:197], v[128:131]// 000000003A84: D3D70080 0E03890C
	v_mfma_i32_16x16x32_i8 v[128:131], a[14:15], v[198:199], v[128:131]// 000000003A8C: D3D70080 0E038D0E
	buffer_load_dword v27, s[20:23], 0 offen lds               // 000000003A94: E0511000 8005001B
	s_add_u32 m0, 0x200, s51                                   // 000000003A9C: 807C33FF 00000200
	v_mfma_i32_16x16x32_i8 v[132:135], a[0:1], v[200:201], v[132:135]// 000000003AA4: D3D70084 0E139100
	v_mfma_i32_16x16x32_i8 v[132:135], a[2:3], v[202:203], v[132:135]// 000000003AAC: D3D70084 0E139502
	buffer_load_dwordx4 a[120:123], v34, s[92:95], 0 offen offset:2048// 000000003AB4: E05C1800 80977822
	v_mfma_i32_16x16x32_i8 v[132:135], a[4:5], v[204:205], v[132:135]// 000000003ABC: D3D70084 0E139904
	v_mfma_i32_16x16x32_i8 v[132:135], a[6:7], v[206:207], v[132:135]// 000000003AC4: D3D70084 0E139D06
	buffer_load_dword v28, s[20:23], 0 offen lds               // 000000003ACC: E0511000 8005001C
	s_add_u32 m0, 0x300, s51                                   // 000000003AD4: 807C33FF 00000300
	v_mfma_i32_16x16x32_i8 v[132:135], a[8:9], v[208:209], v[132:135]// 000000003ADC: D3D70084 0E13A108
	v_mfma_i32_16x16x32_i8 v[132:135], a[10:11], v[210:211], v[132:135]// 000000003AE4: D3D70084 0E13A50A
	buffer_load_dwordx4 a[124:127], v34, s[92:95], 0 offen offset:3072// 000000003AEC: E05C1C00 80977C22
	v_mfma_i32_16x16x32_i8 v[132:135], a[12:13], v[212:213], v[132:135]// 000000003AF4: D3D70084 0E13A90C
	v_mfma_i32_16x16x32_i8 v[132:135], a[14:15], v[214:215], v[132:135]// 000000003AFC: D3D70084 0E13AD0E
	buffer_load_dword v29, s[20:23], 0 offen lds               // 000000003B04: E0511000 8005001D
	s_add_u32 m0, 0x400, s51                                   // 000000003B0C: 807C33FF 00000400
	v_mfma_i32_16x16x32_i8 v[136:139], a[16:17], v[184:185], v[136:139]// 000000003B14: D3D70088 0E237110
	v_mfma_i32_16x16x32_i8 v[136:139], a[18:19], v[186:187], v[136:139]// 000000003B1C: D3D70088 0E237512
	buffer_load_dwordx4 a[128:131], v35, s[92:95], 0 offen     // 000000003B24: E05C1000 80978023
	v_mfma_i32_16x16x32_i8 v[136:139], a[20:21], v[188:189], v[136:139]// 000000003B2C: D3D70088 0E237914
	v_mfma_i32_16x16x32_i8 v[136:139], a[22:23], v[190:191], v[136:139]// 000000003B34: D3D70088 0E237D16
	buffer_load_dword v30, s[20:23], 0 offen lds               // 000000003B3C: E0511000 8005001E
	s_add_u32 m0, 0x500, s51                                   // 000000003B44: 807C33FF 00000500
	v_mfma_i32_16x16x32_i8 v[136:139], a[24:25], v[192:193], v[136:139]// 000000003B4C: D3D70088 0E238118
	v_mfma_i32_16x16x32_i8 v[136:139], a[26:27], v[194:195], v[136:139]// 000000003B54: D3D70088 0E23851A
	buffer_load_dwordx4 a[132:135], v35, s[92:95], 0 offen offset:1024// 000000003B5C: E05C1400 80978423
	v_mfma_i32_16x16x32_i8 v[136:139], a[28:29], v[196:197], v[136:139]// 000000003B64: D3D70088 0E23891C
	v_mfma_i32_16x16x32_i8 v[136:139], a[30:31], v[198:199], v[136:139]// 000000003B6C: D3D70088 0E238D1E
	buffer_load_dword v31, s[20:23], 0 offen lds               // 000000003B74: E0511000 8005001F
	s_add_u32 m0, 0x600, s51                                   // 000000003B7C: 807C33FF 00000600
	v_mfma_i32_16x16x32_i8 v[140:143], a[16:17], v[200:201], v[140:143]// 000000003B84: D3D7008C 0E339110
	v_mfma_i32_16x16x32_i8 v[140:143], a[18:19], v[202:203], v[140:143]// 000000003B8C: D3D7008C 0E339512
	buffer_load_dwordx4 a[136:139], v35, s[92:95], 0 offen offset:2048// 000000003B94: E05C1800 80978823
	v_mfma_i32_16x16x32_i8 v[140:143], a[20:21], v[204:205], v[140:143]// 000000003B9C: D3D7008C 0E339914
	v_mfma_i32_16x16x32_i8 v[140:143], a[22:23], v[206:207], v[140:143]// 000000003BA4: D3D7008C 0E339D16
	buffer_load_dword v32, s[20:23], 0 offen lds               // 000000003BAC: E0511000 80050020
	s_add_u32 m0, 0x700, s51                                   // 000000003BB4: 807C33FF 00000700
	v_mfma_i32_16x16x32_i8 v[140:143], a[24:25], v[208:209], v[140:143]// 000000003BBC: D3D7008C 0E33A118
	v_mfma_i32_16x16x32_i8 v[140:143], a[26:27], v[210:211], v[140:143]// 000000003BC4: D3D7008C 0E33A51A
	buffer_load_dwordx4 a[140:143], v35, s[92:95], 0 offen offset:3072// 000000003BCC: E05C1C00 80978C23
	v_mfma_i32_16x16x32_i8 v[140:143], a[28:29], v[212:213], v[140:143]// 000000003BD4: D3D7008C 0E33A91C
	v_mfma_i32_16x16x32_i8 v[140:143], a[30:31], v[214:215], v[140:143]// 000000003BDC: D3D7008C 0E33AD1E
	buffer_load_dword v33, s[20:23], 0 offen lds               // 000000003BE4: E0511000 80050021
	s_add_u32 m0, 0, s50                                       // 000000003BEC: 807C3280
	s_waitcnt vmcnt(32)                                        // 000000003BF0: BF8C8F70
	v_mfma_i32_16x16x32_i8 v[144:147], a[32:33], v[184:185], v[144:147]// 000000003BF4: D3D70090 0E437120
	v_mfma_i32_16x16x32_i8 v[144:147], a[34:35], v[186:187], v[144:147]// 000000003BFC: D3D70090 0E437522
	buffer_load_dwordx4 a[144:147], v36, s[92:95], 0 offen     // 000000003C04: E05C1000 80979024
	v_mfma_i32_16x16x32_i8 v[144:147], a[36:37], v[188:189], v[144:147]// 000000003C0C: D3D70090 0E437924
	v_mfma_i32_16x16x32_i8 v[144:147], a[38:39], v[190:191], v[144:147]// 000000003C14: D3D70090 0E437D26
	v_mfma_i32_16x16x32_i8 v[144:147], a[40:41], v[192:193], v[144:147]// 000000003C1C: D3D70090 0E438128
	v_mfma_i32_16x16x32_i8 v[144:147], a[42:43], v[194:195], v[144:147]// 000000003C24: D3D70090 0E43852A
	buffer_load_dwordx4 a[148:151], v36, s[92:95], 0 offen offset:1024// 000000003C2C: E05C1400 80979424
	v_mfma_i32_16x16x32_i8 v[144:147], a[44:45], v[196:197], v[144:147]// 000000003C34: D3D70090 0E43892C
	v_mfma_i32_16x16x32_i8 v[144:147], a[46:47], v[198:199], v[144:147]// 000000003C3C: D3D70090 0E438D2E
	v_mfma_i32_16x16x32_i8 v[148:151], a[32:33], v[200:201], v[148:151]// 000000003C44: D3D70094 0E539120
	v_mfma_i32_16x16x32_i8 v[148:151], a[34:35], v[202:203], v[148:151]// 000000003C4C: D3D70094 0E539522
	buffer_load_dwordx4 a[152:155], v36, s[92:95], 0 offen offset:2048// 000000003C54: E05C1800 80979824
	v_mfma_i32_16x16x32_i8 v[148:151], a[36:37], v[204:205], v[148:151]// 000000003C5C: D3D70094 0E539924
	v_mfma_i32_16x16x32_i8 v[148:151], a[38:39], v[206:207], v[148:151]// 000000003C64: D3D70094 0E539D26
	v_mfma_i32_16x16x32_i8 v[148:151], a[40:41], v[208:209], v[148:151]// 000000003C6C: D3D70094 0E53A128
	v_mfma_i32_16x16x32_i8 v[148:151], a[42:43], v[210:211], v[148:151]// 000000003C74: D3D70094 0E53A52A
	buffer_load_dwordx4 a[156:159], v36, s[92:95], 0 offen offset:3072// 000000003C7C: E05C1C00 80979C24
	v_mfma_i32_16x16x32_i8 v[148:151], a[44:45], v[212:213], v[148:151]// 000000003C84: D3D70094 0E53A92C
	v_mfma_i32_16x16x32_i8 v[148:151], a[46:47], v[214:215], v[148:151]// 000000003C8C: D3D70094 0E53AD2E
	s_waitcnt vmcnt(32)                                        // 000000003C94: BF8C8F70
	v_mfma_i32_16x16x32_i8 v[152:155], a[48:49], v[184:185], v[152:155]// 000000003C98: D3D70098 0E637130
	v_mfma_i32_16x16x32_i8 v[152:155], a[50:51], v[186:187], v[152:155]// 000000003CA0: D3D70098 0E637532
	buffer_load_dwordx4 a[160:163], v37, s[92:95], 0 offen     // 000000003CA8: E05C1000 8097A025
	v_mfma_i32_16x16x32_i8 v[152:155], a[52:53], v[188:189], v[152:155]// 000000003CB0: D3D70098 0E637934
	v_mfma_i32_16x16x32_i8 v[152:155], a[54:55], v[190:191], v[152:155]// 000000003CB8: D3D70098 0E637D36
	v_mfma_i32_16x16x32_i8 v[152:155], a[56:57], v[192:193], v[152:155]// 000000003CC0: D3D70098 0E638138
	v_mfma_i32_16x16x32_i8 v[152:155], a[58:59], v[194:195], v[152:155]// 000000003CC8: D3D70098 0E63853A
	buffer_load_dwordx4 a[164:167], v37, s[92:95], 0 offen offset:1024// 000000003CD0: E05C1400 8097A425
	v_mfma_i32_16x16x32_i8 v[152:155], a[60:61], v[196:197], v[152:155]// 000000003CD8: D3D70098 0E63893C
	v_mfma_i32_16x16x32_i8 v[152:155], a[62:63], v[198:199], v[152:155]// 000000003CE0: D3D70098 0E638D3E
	v_mfma_i32_16x16x32_i8 v[156:159], a[48:49], v[200:201], v[156:159]// 000000003CE8: D3D7009C 0E739130
	v_mfma_i32_16x16x32_i8 v[156:159], a[50:51], v[202:203], v[156:159]// 000000003CF0: D3D7009C 0E739532
	buffer_load_dwordx4 a[168:171], v37, s[92:95], 0 offen offset:2048// 000000003CF8: E05C1800 8097A825
	v_mfma_i32_16x16x32_i8 v[156:159], a[52:53], v[204:205], v[156:159]// 000000003D00: D3D7009C 0E739934
	v_mfma_i32_16x16x32_i8 v[156:159], a[54:55], v[206:207], v[156:159]// 000000003D08: D3D7009C 0E739D36
	v_mfma_i32_16x16x32_i8 v[156:159], a[56:57], v[208:209], v[156:159]// 000000003D10: D3D7009C 0E73A138
	v_mfma_i32_16x16x32_i8 v[156:159], a[58:59], v[210:211], v[156:159]// 000000003D18: D3D7009C 0E73A53A
	buffer_load_dwordx4 a[172:175], v37, s[92:95], 0 offen offset:3072// 000000003D20: E05C1C00 8097AC25
	v_mfma_i32_16x16x32_i8 v[156:159], a[60:61], v[212:213], v[156:159]// 000000003D28: D3D7009C 0E73A93C
	v_mfma_i32_16x16x32_i8 v[156:159], a[62:63], v[214:215], v[156:159]// 000000003D30: D3D7009C 0E73AD3E
	s_waitcnt vmcnt(32)                                        // 000000003D38: BF8C8F70
	v_mfma_i32_16x16x32_i8 v[160:163], a[64:65], v[184:185], v[160:163]// 000000003D3C: D3D700A0 0E837140
	v_mfma_i32_16x16x32_i8 v[160:163], a[66:67], v[186:187], v[160:163]// 000000003D44: D3D700A0 0E837542
	buffer_load_dwordx4 a[176:179], v38, s[92:95], 0 offen     // 000000003D4C: E05C1000 8097B026
	v_mfma_i32_16x16x32_i8 v[160:163], a[68:69], v[188:189], v[160:163]// 000000003D54: D3D700A0 0E837944
	v_mfma_i32_16x16x32_i8 v[160:163], a[70:71], v[190:191], v[160:163]// 000000003D5C: D3D700A0 0E837D46
	v_mfma_i32_16x16x32_i8 v[160:163], a[72:73], v[192:193], v[160:163]// 000000003D64: D3D700A0 0E838148
	v_mfma_i32_16x16x32_i8 v[160:163], a[74:75], v[194:195], v[160:163]// 000000003D6C: D3D700A0 0E83854A
	buffer_load_dwordx4 a[180:183], v38, s[92:95], 0 offen offset:1024// 000000003D74: E05C1400 8097B426
	v_mfma_i32_16x16x32_i8 v[160:163], a[76:77], v[196:197], v[160:163]// 000000003D7C: D3D700A0 0E83894C
	v_mfma_i32_16x16x32_i8 v[160:163], a[78:79], v[198:199], v[160:163]// 000000003D84: D3D700A0 0E838D4E
	v_mfma_i32_16x16x32_i8 v[164:167], a[64:65], v[200:201], v[164:167]// 000000003D8C: D3D700A4 0E939140
	v_mfma_i32_16x16x32_i8 v[164:167], a[66:67], v[202:203], v[164:167]// 000000003D94: D3D700A4 0E939542
	buffer_load_dwordx4 a[184:187], v38, s[92:95], 0 offen offset:2048// 000000003D9C: E05C1800 8097B826
	v_mfma_i32_16x16x32_i8 v[164:167], a[68:69], v[204:205], v[164:167]// 000000003DA4: D3D700A4 0E939944
	v_mfma_i32_16x16x32_i8 v[164:167], a[70:71], v[206:207], v[164:167]// 000000003DAC: D3D700A4 0E939D46
	v_mfma_i32_16x16x32_i8 v[164:167], a[72:73], v[208:209], v[164:167]// 000000003DB4: D3D700A4 0E93A148
	v_mfma_i32_16x16x32_i8 v[164:167], a[74:75], v[210:211], v[164:167]// 000000003DBC: D3D700A4 0E93A54A
	buffer_load_dwordx4 a[188:191], v38, s[92:95], 0 offen offset:3072// 000000003DC4: E05C1C00 8097BC26
	v_mfma_i32_16x16x32_i8 v[164:167], a[76:77], v[212:213], v[164:167]// 000000003DCC: D3D700A4 0E93A94C
	v_mfma_i32_16x16x32_i8 v[164:167], a[78:79], v[214:215], v[164:167]// 000000003DD4: D3D700A4 0E93AD4E
	s_waitcnt vmcnt(32)                                        // 000000003DDC: BF8C8F70
	v_mfma_i32_16x16x32_i8 v[168:171], a[80:81], v[184:185], v[168:171]// 000000003DE0: D3D700A8 0EA37150
	v_mfma_i32_16x16x32_i8 v[168:171], a[82:83], v[186:187], v[168:171]// 000000003DE8: D3D700A8 0EA37552
	buffer_load_dwordx4 a[192:195], v39, s[92:95], 0 offen     // 000000003DF0: E05C1000 8097C027
	v_mfma_i32_16x16x32_i8 v[168:171], a[84:85], v[188:189], v[168:171]// 000000003DF8: D3D700A8 0EA37954
	v_mfma_i32_16x16x32_i8 v[168:171], a[86:87], v[190:191], v[168:171]// 000000003E00: D3D700A8 0EA37D56
	v_mfma_i32_16x16x32_i8 v[168:171], a[88:89], v[192:193], v[168:171]// 000000003E08: D3D700A8 0EA38158
	v_mfma_i32_16x16x32_i8 v[168:171], a[90:91], v[194:195], v[168:171]// 000000003E10: D3D700A8 0EA3855A
	buffer_load_dwordx4 a[196:199], v39, s[92:95], 0 offen offset:1024// 000000003E18: E05C1400 8097C427
	v_mfma_i32_16x16x32_i8 v[168:171], a[92:93], v[196:197], v[168:171]// 000000003E20: D3D700A8 0EA3895C
	v_mfma_i32_16x16x32_i8 v[168:171], a[94:95], v[198:199], v[168:171]// 000000003E28: D3D700A8 0EA38D5E
	v_mfma_i32_16x16x32_i8 v[172:175], a[80:81], v[200:201], v[172:175]// 000000003E30: D3D700AC 0EB39150
	v_mfma_i32_16x16x32_i8 v[172:175], a[82:83], v[202:203], v[172:175]// 000000003E38: D3D700AC 0EB39552
	buffer_load_dwordx4 a[200:203], v39, s[92:95], 0 offen offset:2048// 000000003E40: E05C1800 8097C827
	v_mfma_i32_16x16x32_i8 v[172:175], a[84:85], v[204:205], v[172:175]// 000000003E48: D3D700AC 0EB39954
	v_mfma_i32_16x16x32_i8 v[172:175], a[86:87], v[206:207], v[172:175]// 000000003E50: D3D700AC 0EB39D56
	v_mfma_i32_16x16x32_i8 v[172:175], a[88:89], v[208:209], v[172:175]// 000000003E58: D3D700AC 0EB3A158
	v_mfma_i32_16x16x32_i8 v[172:175], a[90:91], v[210:211], v[172:175]// 000000003E60: D3D700AC 0EB3A55A
	buffer_load_dwordx4 a[204:207], v39, s[92:95], 0 offen offset:3072// 000000003E68: E05C1C00 8097CC27
	v_mfma_i32_16x16x32_i8 v[172:175], a[92:93], v[212:213], v[172:175]// 000000003E70: D3D700AC 0EB3A95C
	v_mfma_i32_16x16x32_i8 v[172:175], a[94:95], v[214:215], v[172:175]// 000000003E78: D3D700AC 0EB3AD5E
	s_waitcnt vmcnt(32)                                        // 000000003E80: BF8C8F70
	v_mfma_i32_16x16x32_i8 v[176:179], a[96:97], v[184:185], v[176:179]// 000000003E84: D3D700B0 0EC37160
	v_mfma_i32_16x16x32_i8 v[176:179], a[98:99], v[186:187], v[176:179]// 000000003E8C: D3D700B0 0EC37562
	buffer_load_dwordx4 a[208:211], v40, s[92:95], 0 offen     // 000000003E94: E05C1000 8097D028
	v_mfma_i32_16x16x32_i8 v[176:179], a[100:101], v[188:189], v[176:179]// 000000003E9C: D3D700B0 0EC37964
	v_mfma_i32_16x16x32_i8 v[176:179], a[102:103], v[190:191], v[176:179]// 000000003EA4: D3D700B0 0EC37D66
	v_mfma_i32_16x16x32_i8 v[176:179], a[104:105], v[192:193], v[176:179]// 000000003EAC: D3D700B0 0EC38168
	v_mfma_i32_16x16x32_i8 v[176:179], a[106:107], v[194:195], v[176:179]// 000000003EB4: D3D700B0 0EC3856A
	buffer_load_dwordx4 a[212:215], v40, s[92:95], 0 offen offset:1024// 000000003EBC: E05C1400 8097D428
	v_mfma_i32_16x16x32_i8 v[176:179], a[108:109], v[196:197], v[176:179]// 000000003EC4: D3D700B0 0EC3896C
	v_mfma_i32_16x16x32_i8 v[176:179], a[110:111], v[198:199], v[176:179]// 000000003ECC: D3D700B0 0EC38D6E
	v_mfma_i32_16x16x32_i8 v[180:183], a[96:97], v[200:201], v[180:183]// 000000003ED4: D3D700B4 0ED39160
	v_mfma_i32_16x16x32_i8 v[180:183], a[98:99], v[202:203], v[180:183]// 000000003EDC: D3D700B4 0ED39562
	buffer_load_dwordx4 a[216:219], v40, s[92:95], 0 offen offset:2048// 000000003EE4: E05C1800 8097D828
	v_mfma_i32_16x16x32_i8 v[180:183], a[100:101], v[204:205], v[180:183]// 000000003EEC: D3D700B4 0ED39964
	v_mfma_i32_16x16x32_i8 v[180:183], a[102:103], v[206:207], v[180:183]// 000000003EF4: D3D700B4 0ED39D66
	v_mfma_i32_16x16x32_i8 v[180:183], a[104:105], v[208:209], v[180:183]// 000000003EFC: D3D700B4 0ED3A168
	v_mfma_i32_16x16x32_i8 v[180:183], a[106:107], v[210:211], v[180:183]// 000000003F04: D3D700B4 0ED3A56A
	buffer_load_dwordx4 a[220:223], v40, s[92:95], 0 offen offset:3072// 000000003F0C: E05C1C00 8097DC28
	v_mfma_i32_16x16x32_i8 v[180:183], a[108:109], v[212:213], v[180:183]// 000000003F14: D3D700B4 0ED3A96C
	v_mfma_i32_16x16x32_i8 v[180:183], a[110:111], v[214:215], v[180:183]// 000000003F1C: D3D700B4 0ED3AD6E
	s_waitcnt vmcnt(20)                                        // 000000003F24: BF8C4F74
	s_barrier                                                  // 000000003F28: BF8A0000
	v_mfma_i32_16x16x32_i8 v[64:67], a[112:113], v[184:185], v[64:67]// 000000003F2C: D3D70040 0D037170
	v_mfma_i32_16x16x32_i8 v[64:67], a[114:115], v[186:187], v[64:67]// 000000003F34: D3D70040 0D037572
	buffer_load_dwordx4 a[0:3], v34, s[24:27], 0 offen         // 000000003F3C: E05C1000 80860022
	v_mfma_i32_16x16x32_i8 v[64:67], a[116:117], v[188:189], v[64:67]// 000000003F44: D3D70040 0D037974
	v_mfma_i32_16x16x32_i8 v[64:67], a[118:119], v[190:191], v[64:67]// 000000003F4C: D3D70040 0D037D76
	v_mfma_i32_16x16x32_i8 v[64:67], a[120:121], v[192:193], v[64:67]// 000000003F54: D3D70040 0D038178
	v_mfma_i32_16x16x32_i8 v[64:67], a[122:123], v[194:195], v[64:67]// 000000003F5C: D3D70040 0D03857A
	buffer_load_dwordx4 a[4:7], v34, s[24:27], 0 offen offset:1024// 000000003F64: E05C1400 80860422
	v_mfma_i32_16x16x32_i8 v[64:67], a[124:125], v[196:197], v[64:67]// 000000003F6C: D3D70040 0D03897C
	v_mfma_i32_16x16x32_i8 v[64:67], a[126:127], v[198:199], v[64:67]// 000000003F74: D3D70040 0D038D7E
	v_mfma_i32_16x16x32_i8 v[68:71], a[112:113], v[200:201], v[68:71]// 000000003F7C: D3D70044 0D139170
	v_mfma_i32_16x16x32_i8 v[68:71], a[114:115], v[202:203], v[68:71]// 000000003F84: D3D70044 0D139572
	buffer_load_dwordx4 a[8:11], v34, s[24:27], 0 offen offset:2048// 000000003F8C: E05C1800 80860822
	v_mfma_i32_16x16x32_i8 v[68:71], a[116:117], v[204:205], v[68:71]// 000000003F94: D3D70044 0D139974
	v_mfma_i32_16x16x32_i8 v[68:71], a[118:119], v[206:207], v[68:71]// 000000003F9C: D3D70044 0D139D76
	v_mfma_i32_16x16x32_i8 v[68:71], a[120:121], v[208:209], v[68:71]// 000000003FA4: D3D70044 0D13A178
	v_mfma_i32_16x16x32_i8 v[68:71], a[122:123], v[210:211], v[68:71]// 000000003FAC: D3D70044 0D13A57A
	buffer_load_dwordx4 a[12:15], v34, s[24:27], 0 offen offset:3072// 000000003FB4: E05C1C00 80860C22
	v_mfma_i32_16x16x32_i8 v[68:71], a[124:125], v[212:213], v[68:71]// 000000003FBC: D3D70044 0D13A97C
	v_mfma_i32_16x16x32_i8 v[68:71], a[126:127], v[214:215], v[68:71]// 000000003FC4: D3D70044 0D13AD7E
	v_mfma_i32_16x16x32_i8 v[72:75], a[128:129], v[184:185], v[72:75]// 000000003FCC: D3D70048 0D237180
	v_mfma_i32_16x16x32_i8 v[72:75], a[130:131], v[186:187], v[72:75]// 000000003FD4: D3D70048 0D237582
	buffer_load_dwordx4 a[16:19], v35, s[24:27], 0 offen       // 000000003FDC: E05C1000 80861023
	v_mfma_i32_16x16x32_i8 v[72:75], a[132:133], v[188:189], v[72:75]// 000000003FE4: D3D70048 0D237984
	v_mfma_i32_16x16x32_i8 v[72:75], a[134:135], v[190:191], v[72:75]// 000000003FEC: D3D70048 0D237D86
	v_mfma_i32_16x16x32_i8 v[72:75], a[136:137], v[192:193], v[72:75]// 000000003FF4: D3D70048 0D238188
	v_mfma_i32_16x16x32_i8 v[72:75], a[138:139], v[194:195], v[72:75]// 000000003FFC: D3D70048 0D23858A
	buffer_load_dwordx4 a[20:23], v35, s[24:27], 0 offen offset:1024// 000000004004: E05C1400 80861423
	v_mfma_i32_16x16x32_i8 v[72:75], a[140:141], v[196:197], v[72:75]// 00000000400C: D3D70048 0D23898C
	v_mfma_i32_16x16x32_i8 v[72:75], a[142:143], v[198:199], v[72:75]// 000000004014: D3D70048 0D238D8E
	v_mfma_i32_16x16x32_i8 v[76:79], a[128:129], v[200:201], v[76:79]// 00000000401C: D3D7004C 0D339180
	v_mfma_i32_16x16x32_i8 v[76:79], a[130:131], v[202:203], v[76:79]// 000000004024: D3D7004C 0D339582
	buffer_load_dwordx4 a[24:27], v35, s[24:27], 0 offen offset:2048// 00000000402C: E05C1800 80861823
	v_mfma_i32_16x16x32_i8 v[76:79], a[132:133], v[204:205], v[76:79]// 000000004034: D3D7004C 0D339984
	v_mfma_i32_16x16x32_i8 v[76:79], a[134:135], v[206:207], v[76:79]// 00000000403C: D3D7004C 0D339D86
	v_mfma_i32_16x16x32_i8 v[76:79], a[136:137], v[208:209], v[76:79]// 000000004044: D3D7004C 0D33A188
	v_mfma_i32_16x16x32_i8 v[76:79], a[138:139], v[210:211], v[76:79]// 00000000404C: D3D7004C 0D33A58A
	buffer_load_dwordx4 a[28:31], v35, s[24:27], 0 offen offset:3072// 000000004054: E05C1C00 80861C23
	v_mfma_i32_16x16x32_i8 v[76:79], a[140:141], v[212:213], v[76:79]// 00000000405C: D3D7004C 0D33A98C
	v_mfma_i32_16x16x32_i8 v[76:79], a[142:143], v[214:215], v[76:79]// 000000004064: D3D7004C 0D33AD8E
	s_waitcnt vmcnt(24)                                        // 00000000406C: BF8C4F78
	v_mfma_i32_16x16x32_i8 v[80:83], a[144:145], v[184:185], v[80:83]// 000000004070: D3D70050 0D437190
	v_mfma_i32_16x16x32_i8 v[80:83], a[146:147], v[186:187], v[80:83]// 000000004078: D3D70050 0D437592
	buffer_load_dwordx4 a[32:35], v36, s[24:27], 0 offen       // 000000004080: E05C1000 80862024
	v_mfma_i32_16x16x32_i8 v[80:83], a[148:149], v[188:189], v[80:83]// 000000004088: D3D70050 0D437994
	v_mfma_i32_16x16x32_i8 v[80:83], a[150:151], v[190:191], v[80:83]// 000000004090: D3D70050 0D437D96
	ds_read_b128 v[216:219], v2 offset:8320                    // 000000004098: D9FE2080 D8000002
	v_mfma_i32_16x16x32_i8 v[80:83], a[152:153], v[192:193], v[80:83]// 0000000040A0: D3D70050 0D438198
	v_mfma_i32_16x16x32_i8 v[80:83], a[154:155], v[194:195], v[80:83]// 0000000040A8: D3D70050 0D43859A
	buffer_load_dwordx4 a[36:39], v36, s[24:27], 0 offen offset:1024// 0000000040B0: E05C1400 80862424
	v_mfma_i32_16x16x32_i8 v[80:83], a[156:157], v[196:197], v[80:83]// 0000000040B8: D3D70050 0D43899C
	v_mfma_i32_16x16x32_i8 v[80:83], a[158:159], v[198:199], v[80:83]// 0000000040C0: D3D70050 0D438D9E
	ds_read_b128 v[220:223], v2 offset:8384                    // 0000000040C8: D9FE20C0 DC000002
	v_mfma_i32_16x16x32_i8 v[84:87], a[144:145], v[200:201], v[84:87]// 0000000040D0: D3D70054 0D539190
	v_mfma_i32_16x16x32_i8 v[84:87], a[146:147], v[202:203], v[84:87]// 0000000040D8: D3D70054 0D539592
	buffer_load_dwordx4 a[40:43], v36, s[24:27], 0 offen offset:2048// 0000000040E0: E05C1800 80862824
	v_mfma_i32_16x16x32_i8 v[84:87], a[148:149], v[204:205], v[84:87]// 0000000040E8: D3D70054 0D539994
	v_mfma_i32_16x16x32_i8 v[84:87], a[150:151], v[206:207], v[84:87]// 0000000040F0: D3D70054 0D539D96
	ds_read_b128 v[224:227], v2 offset:8448                    // 0000000040F8: D9FE2100 E0000002
	v_mfma_i32_16x16x32_i8 v[84:87], a[152:153], v[208:209], v[84:87]// 000000004100: D3D70054 0D53A198
	v_mfma_i32_16x16x32_i8 v[84:87], a[154:155], v[210:211], v[84:87]// 000000004108: D3D70054 0D53A59A
	buffer_load_dwordx4 a[44:47], v36, s[24:27], 0 offen offset:3072// 000000004110: E05C1C00 80862C24
	v_mfma_i32_16x16x32_i8 v[84:87], a[156:157], v[212:213], v[84:87]// 000000004118: D3D70054 0D53A99C
	v_mfma_i32_16x16x32_i8 v[84:87], a[158:159], v[214:215], v[84:87]// 000000004120: D3D70054 0D53AD9E
	ds_read_b128 v[228:231], v2 offset:8512                    // 000000004128: D9FE2140 E4000002
	s_waitcnt vmcnt(24)                                        // 000000004130: BF8C4F78
	v_mfma_i32_16x16x32_i8 v[88:91], a[160:161], v[184:185], v[88:91]// 000000004134: D3D70058 0D6371A0
	v_mfma_i32_16x16x32_i8 v[88:91], a[162:163], v[186:187], v[88:91]// 00000000413C: D3D70058 0D6375A2
	buffer_load_dwordx4 a[48:51], v37, s[24:27], 0 offen       // 000000004144: E05C1000 80863025
	v_mfma_i32_16x16x32_i8 v[88:91], a[164:165], v[188:189], v[88:91]// 00000000414C: D3D70058 0D6379A4
	v_mfma_i32_16x16x32_i8 v[88:91], a[166:167], v[190:191], v[88:91]// 000000004154: D3D70058 0D637DA6
	ds_read_b128 v[232:235], v2 offset:9344                    // 00000000415C: D9FE2480 E8000002
	v_mfma_i32_16x16x32_i8 v[88:91], a[168:169], v[192:193], v[88:91]// 000000004164: D3D70058 0D6381A8
	v_mfma_i32_16x16x32_i8 v[88:91], a[170:171], v[194:195], v[88:91]// 00000000416C: D3D70058 0D6385AA
	buffer_load_dwordx4 a[52:55], v37, s[24:27], 0 offen offset:1024// 000000004174: E05C1400 80863425
	v_mfma_i32_16x16x32_i8 v[88:91], a[172:173], v[196:197], v[88:91]// 00000000417C: D3D70058 0D6389AC
	v_mfma_i32_16x16x32_i8 v[88:91], a[174:175], v[198:199], v[88:91]// 000000004184: D3D70058 0D638DAE
	ds_read_b128 v[236:239], v2 offset:9408                    // 00000000418C: D9FE24C0 EC000002
	v_mfma_i32_16x16x32_i8 v[92:95], a[160:161], v[200:201], v[92:95]// 000000004194: D3D7005C 0D7391A0
	v_mfma_i32_16x16x32_i8 v[92:95], a[162:163], v[202:203], v[92:95]// 00000000419C: D3D7005C 0D7395A2
	buffer_load_dwordx4 a[56:59], v37, s[24:27], 0 offen offset:2048// 0000000041A4: E05C1800 80863825
	v_mfma_i32_16x16x32_i8 v[92:95], a[164:165], v[204:205], v[92:95]// 0000000041AC: D3D7005C 0D7399A4
	v_mfma_i32_16x16x32_i8 v[92:95], a[166:167], v[206:207], v[92:95]// 0000000041B4: D3D7005C 0D739DA6
	ds_read_b128 v[240:243], v2 offset:9472                    // 0000000041BC: D9FE2500 F0000002
	v_mfma_i32_16x16x32_i8 v[92:95], a[168:169], v[208:209], v[92:95]// 0000000041C4: D3D7005C 0D73A1A8
	v_mfma_i32_16x16x32_i8 v[92:95], a[170:171], v[210:211], v[92:95]// 0000000041CC: D3D7005C 0D73A5AA
	buffer_load_dwordx4 a[60:63], v37, s[24:27], 0 offen offset:3072// 0000000041D4: E05C1C00 80863C25
	v_mfma_i32_16x16x32_i8 v[92:95], a[172:173], v[212:213], v[92:95]// 0000000041DC: D3D7005C 0D73A9AC
	v_mfma_i32_16x16x32_i8 v[92:95], a[174:175], v[214:215], v[92:95]// 0000000041E4: D3D7005C 0D73ADAE
	ds_read_b128 v[244:247], v2 offset:9536                    // 0000000041EC: D9FE2540 F4000002
	s_waitcnt vmcnt(24)                                        // 0000000041F4: BF8C4F78
	v_mfma_i32_16x16x32_i8 v[96:99], a[176:177], v[184:185], v[96:99]// 0000000041F8: D3D70060 0D8371B0
	v_mfma_i32_16x16x32_i8 v[96:99], a[178:179], v[186:187], v[96:99]// 000000004200: D3D70060 0D8375B2
	buffer_load_dwordx4 a[64:67], v38, s[24:27], 0 offen       // 000000004208: E05C1000 80864026
	v_mfma_i32_16x16x32_i8 v[96:99], a[180:181], v[188:189], v[96:99]// 000000004210: D3D70060 0D8379B4
	v_mfma_i32_16x16x32_i8 v[96:99], a[182:183], v[190:191], v[96:99]// 000000004218: D3D70060 0D837DB6
	v_mfma_i32_16x16x32_i8 v[96:99], a[184:185], v[192:193], v[96:99]// 000000004220: D3D70060 0D8381B8
	v_mfma_i32_16x16x32_i8 v[96:99], a[186:187], v[194:195], v[96:99]// 000000004228: D3D70060 0D8385BA
	buffer_load_dwordx4 a[68:71], v38, s[24:27], 0 offen offset:1024// 000000004230: E05C1400 80864426
	v_mfma_i32_16x16x32_i8 v[96:99], a[188:189], v[196:197], v[96:99]// 000000004238: D3D70060 0D8389BC
	v_mfma_i32_16x16x32_i8 v[96:99], a[190:191], v[198:199], v[96:99]// 000000004240: D3D70060 0D838DBE
	v_mfma_i32_16x16x32_i8 v[100:103], a[176:177], v[200:201], v[100:103]// 000000004248: D3D70064 0D9391B0
	v_mfma_i32_16x16x32_i8 v[100:103], a[178:179], v[202:203], v[100:103]// 000000004250: D3D70064 0D9395B2
	buffer_load_dwordx4 a[72:75], v38, s[24:27], 0 offen offset:2048// 000000004258: E05C1800 80864826
	v_mfma_i32_16x16x32_i8 v[100:103], a[180:181], v[204:205], v[100:103]// 000000004260: D3D70064 0D9399B4
	v_mfma_i32_16x16x32_i8 v[100:103], a[182:183], v[206:207], v[100:103]// 000000004268: D3D70064 0D939DB6
	v_mfma_i32_16x16x32_i8 v[100:103], a[184:185], v[208:209], v[100:103]// 000000004270: D3D70064 0D93A1B8
	v_mfma_i32_16x16x32_i8 v[100:103], a[186:187], v[210:211], v[100:103]// 000000004278: D3D70064 0D93A5BA
	buffer_load_dwordx4 a[76:79], v38, s[24:27], 0 offen offset:3072// 000000004280: E05C1C00 80864C26
	v_mfma_i32_16x16x32_i8 v[100:103], a[188:189], v[212:213], v[100:103]// 000000004288: D3D70064 0D93A9BC
	v_mfma_i32_16x16x32_i8 v[100:103], a[190:191], v[214:215], v[100:103]// 000000004290: D3D70064 0D93ADBE
	s_waitcnt vmcnt(24)                                        // 000000004298: BF8C4F78
	v_mfma_i32_16x16x32_i8 v[104:107], a[192:193], v[184:185], v[104:107]// 00000000429C: D3D70068 0DA371C0
	v_mfma_i32_16x16x32_i8 v[104:107], a[194:195], v[186:187], v[104:107]// 0000000042A4: D3D70068 0DA375C2
	buffer_load_dwordx4 a[80:83], v39, s[24:27], 0 offen       // 0000000042AC: E05C1000 80865027
	v_mfma_i32_16x16x32_i8 v[104:107], a[196:197], v[188:189], v[104:107]// 0000000042B4: D3D70068 0DA379C4
	v_mfma_i32_16x16x32_i8 v[104:107], a[198:199], v[190:191], v[104:107]// 0000000042BC: D3D70068 0DA37DC6
	v_mfma_i32_16x16x32_i8 v[104:107], a[200:201], v[192:193], v[104:107]// 0000000042C4: D3D70068 0DA381C8
	v_mfma_i32_16x16x32_i8 v[104:107], a[202:203], v[194:195], v[104:107]// 0000000042CC: D3D70068 0DA385CA
	buffer_load_dwordx4 a[84:87], v39, s[24:27], 0 offen offset:1024// 0000000042D4: E05C1400 80865427
	v_mfma_i32_16x16x32_i8 v[104:107], a[204:205], v[196:197], v[104:107]// 0000000042DC: D3D70068 0DA389CC
	v_mfma_i32_16x16x32_i8 v[104:107], a[206:207], v[198:199], v[104:107]// 0000000042E4: D3D70068 0DA38DCE
	v_mfma_i32_16x16x32_i8 v[108:111], a[192:193], v[200:201], v[108:111]// 0000000042EC: D3D7006C 0DB391C0
	v_mfma_i32_16x16x32_i8 v[108:111], a[194:195], v[202:203], v[108:111]// 0000000042F4: D3D7006C 0DB395C2
	buffer_load_dwordx4 a[88:91], v39, s[24:27], 0 offen offset:2048// 0000000042FC: E05C1800 80865827
	v_mfma_i32_16x16x32_i8 v[108:111], a[196:197], v[204:205], v[108:111]// 000000004304: D3D7006C 0DB399C4
	v_mfma_i32_16x16x32_i8 v[108:111], a[198:199], v[206:207], v[108:111]// 00000000430C: D3D7006C 0DB39DC6
	v_mfma_i32_16x16x32_i8 v[108:111], a[200:201], v[208:209], v[108:111]// 000000004314: D3D7006C 0DB3A1C8
	v_mfma_i32_16x16x32_i8 v[108:111], a[202:203], v[210:211], v[108:111]// 00000000431C: D3D7006C 0DB3A5CA
	buffer_load_dwordx4 a[92:95], v39, s[24:27], 0 offen offset:3072// 000000004324: E05C1C00 80865C27
	v_mfma_i32_16x16x32_i8 v[108:111], a[204:205], v[212:213], v[108:111]// 00000000432C: D3D7006C 0DB3A9CC
	v_mfma_i32_16x16x32_i8 v[108:111], a[206:207], v[214:215], v[108:111]// 000000004334: D3D7006C 0DB3ADCE
	s_waitcnt vmcnt(24)                                        // 00000000433C: BF8C4F78
	v_mfma_i32_16x16x32_i8 v[112:115], a[208:209], v[184:185], v[112:115]// 000000004340: D3D70070 0DC371D0
	v_mfma_i32_16x16x32_i8 v[112:115], a[210:211], v[186:187], v[112:115]// 000000004348: D3D70070 0DC375D2
	buffer_load_dwordx4 a[96:99], v40, s[24:27], 0 offen       // 000000004350: E05C1000 80866028
	v_mfma_i32_16x16x32_i8 v[112:115], a[212:213], v[188:189], v[112:115]// 000000004358: D3D70070 0DC379D4
	v_mfma_i32_16x16x32_i8 v[112:115], a[214:215], v[190:191], v[112:115]// 000000004360: D3D70070 0DC37DD6
	v_mfma_i32_16x16x32_i8 v[112:115], a[216:217], v[192:193], v[112:115]// 000000004368: D3D70070 0DC381D8
	v_mfma_i32_16x16x32_i8 v[112:115], a[218:219], v[194:195], v[112:115]// 000000004370: D3D70070 0DC385DA
	buffer_load_dwordx4 a[100:103], v40, s[24:27], 0 offen offset:1024// 000000004378: E05C1400 80866428
	v_mfma_i32_16x16x32_i8 v[112:115], a[220:221], v[196:197], v[112:115]// 000000004380: D3D70070 0DC389DC
	v_mfma_i32_16x16x32_i8 v[112:115], a[222:223], v[198:199], v[112:115]// 000000004388: D3D70070 0DC38DDE
	v_mfma_i32_16x16x32_i8 v[116:119], a[208:209], v[200:201], v[116:119]// 000000004390: D3D70074 0DD391D0
	v_mfma_i32_16x16x32_i8 v[116:119], a[210:211], v[202:203], v[116:119]// 000000004398: D3D70074 0DD395D2
	buffer_load_dwordx4 a[104:107], v40, s[24:27], 0 offen offset:2048// 0000000043A0: E05C1800 80866828
	v_mfma_i32_16x16x32_i8 v[116:119], a[212:213], v[204:205], v[116:119]// 0000000043A8: D3D70074 0DD399D4
	v_mfma_i32_16x16x32_i8 v[116:119], a[214:215], v[206:207], v[116:119]// 0000000043B0: D3D70074 0DD39DD6
	v_mfma_i32_16x16x32_i8 v[116:119], a[216:217], v[208:209], v[116:119]// 0000000043B8: D3D70074 0DD3A1D8
	v_mfma_i32_16x16x32_i8 v[116:119], a[218:219], v[210:211], v[116:119]// 0000000043C0: D3D70074 0DD3A5DA
	buffer_load_dwordx4 a[108:111], v40, s[24:27], 0 offen offset:3072// 0000000043C8: E05C1C00 80866C28
	v_mfma_i32_16x16x32_i8 v[116:119], a[220:221], v[212:213], v[116:119]// 0000000043D0: D3D70074 0DD3A9DC
	v_mfma_i32_16x16x32_i8 v[116:119], a[222:223], v[214:215], v[116:119]// 0000000043D8: D3D70074 0DD3ADDE
	s_add_u32 s60, 0x200, s80                                  // 0000000043E0: 803C50FF 00000200
	s_cmp_lt_u32 s60, s81                                      // 0000000043E8: BF0A513C
	s_cselect_b32 s57, s57, 0                                  // 0000000043EC: 85398039
	s_add_u32 s60, 0x200, s80                                  // 0000000043F0: 803C50FF 00000200
	s_cmp_lt_u32 s60, s81                                      // 0000000043F8: BF0A513C
	s_cselect_b32 s58, s58, 0                                  // 0000000043FC: 853A803A
	s_add_u32 s20, s57, s20                                    // 000000004400: 80141439
	s_addc_u32 s21, 0, s21                                     // 000000004404: 82151580
	s_add_u32 s24, s58, s24                                    // 000000004408: 8018183A
	s_addc_u32 s25, 0, s25                                     // 00000000440C: 82191980
	s_add_u32 s92, s90, s92                                    // 000000004410: 805C5C5A
	s_addc_u32 s93, 0, s93                                     // 000000004414: 825D5D80
	s_addk_i32 s80, 0x100                                      // 000000004418: B7500100
	s_cmp_lt_i32 s80, s81                                      // 00000000441C: BF045150
	s_cbranch_scc0 label_0808                                  // 000000004420: BF84027F
	s_waitcnt vmcnt(20) lgkmcnt(0)                             // 000000004424: BF8C4074
	s_barrier                                                  // 000000004428: BF8A0000
	v_mfma_i32_16x16x32_i8 v[128:131], a[0:1], v[216:217], v[128:131]// 00000000442C: D3D70080 0E03B100
	v_mfma_i32_16x16x32_i8 v[128:131], a[2:3], v[218:219], v[128:131]// 000000004434: D3D70080 0E03B502
	buffer_load_dwordx4 a[112:115], v34, s[92:95], 0 offen     // 00000000443C: E05C1000 80977022
	v_mfma_i32_16x16x32_i8 v[128:131], a[4:5], v[220:221], v[128:131]// 000000004444: D3D70080 0E03B904
	v_mfma_i32_16x16x32_i8 v[128:131], a[6:7], v[222:223], v[128:131]// 00000000444C: D3D70080 0E03BD06
	buffer_load_dword v26, s[20:23], 0 offen lds               // 000000004454: E0511000 8005001A
	s_add_u32 m0, 0x100, s50                                   // 00000000445C: 807C32FF 00000100
	v_mfma_i32_16x16x32_i8 v[128:131], a[8:9], v[224:225], v[128:131]// 000000004464: D3D70080 0E03C108
	v_mfma_i32_16x16x32_i8 v[128:131], a[10:11], v[226:227], v[128:131]// 00000000446C: D3D70080 0E03C50A
	buffer_load_dwordx4 a[116:119], v34, s[92:95], 0 offen offset:1024// 000000004474: E05C1400 80977422
	v_mfma_i32_16x16x32_i8 v[128:131], a[12:13], v[228:229], v[128:131]// 00000000447C: D3D70080 0E03C90C
	v_mfma_i32_16x16x32_i8 v[128:131], a[14:15], v[230:231], v[128:131]// 000000004484: D3D70080 0E03CD0E
	buffer_load_dword v27, s[20:23], 0 offen lds               // 00000000448C: E0511000 8005001B
	s_add_u32 m0, 0x200, s50                                   // 000000004494: 807C32FF 00000200
	v_mfma_i32_16x16x32_i8 v[132:135], a[0:1], v[232:233], v[132:135]// 00000000449C: D3D70084 0E13D100
	v_mfma_i32_16x16x32_i8 v[132:135], a[2:3], v[234:235], v[132:135]// 0000000044A4: D3D70084 0E13D502
	buffer_load_dwordx4 a[120:123], v34, s[92:95], 0 offen offset:2048// 0000000044AC: E05C1800 80977822
	v_mfma_i32_16x16x32_i8 v[132:135], a[4:5], v[236:237], v[132:135]// 0000000044B4: D3D70084 0E13D904
	v_mfma_i32_16x16x32_i8 v[132:135], a[6:7], v[238:239], v[132:135]// 0000000044BC: D3D70084 0E13DD06
	buffer_load_dword v28, s[20:23], 0 offen lds               // 0000000044C4: E0511000 8005001C
	s_add_u32 m0, 0x300, s50                                   // 0000000044CC: 807C32FF 00000300
	v_mfma_i32_16x16x32_i8 v[132:135], a[8:9], v[240:241], v[132:135]// 0000000044D4: D3D70084 0E13E108
	v_mfma_i32_16x16x32_i8 v[132:135], a[10:11], v[242:243], v[132:135]// 0000000044DC: D3D70084 0E13E50A
	buffer_load_dwordx4 a[124:127], v34, s[92:95], 0 offen offset:3072// 0000000044E4: E05C1C00 80977C22
	v_mfma_i32_16x16x32_i8 v[132:135], a[12:13], v[244:245], v[132:135]// 0000000044EC: D3D70084 0E13E90C
	v_mfma_i32_16x16x32_i8 v[132:135], a[14:15], v[246:247], v[132:135]// 0000000044F4: D3D70084 0E13ED0E
	buffer_load_dword v29, s[20:23], 0 offen lds               // 0000000044FC: E0511000 8005001D
	s_add_u32 m0, 0x400, s50                                   // 000000004504: 807C32FF 00000400
	v_mfma_i32_16x16x32_i8 v[136:139], a[16:17], v[216:217], v[136:139]// 00000000450C: D3D70088 0E23B110
	v_mfma_i32_16x16x32_i8 v[136:139], a[18:19], v[218:219], v[136:139]// 000000004514: D3D70088 0E23B512
	buffer_load_dwordx4 a[128:131], v35, s[92:95], 0 offen     // 00000000451C: E05C1000 80978023
	v_mfma_i32_16x16x32_i8 v[136:139], a[20:21], v[220:221], v[136:139]// 000000004524: D3D70088 0E23B914
	v_mfma_i32_16x16x32_i8 v[136:139], a[22:23], v[222:223], v[136:139]// 00000000452C: D3D70088 0E23BD16
	buffer_load_dword v30, s[20:23], 0 offen lds               // 000000004534: E0511000 8005001E
	s_add_u32 m0, 0x500, s50                                   // 00000000453C: 807C32FF 00000500
	v_mfma_i32_16x16x32_i8 v[136:139], a[24:25], v[224:225], v[136:139]// 000000004544: D3D70088 0E23C118
	v_mfma_i32_16x16x32_i8 v[136:139], a[26:27], v[226:227], v[136:139]// 00000000454C: D3D70088 0E23C51A
	buffer_load_dwordx4 a[132:135], v35, s[92:95], 0 offen offset:1024// 000000004554: E05C1400 80978423
	v_mfma_i32_16x16x32_i8 v[136:139], a[28:29], v[228:229], v[136:139]// 00000000455C: D3D70088 0E23C91C
	v_mfma_i32_16x16x32_i8 v[136:139], a[30:31], v[230:231], v[136:139]// 000000004564: D3D70088 0E23CD1E
	buffer_load_dword v31, s[20:23], 0 offen lds               // 00000000456C: E0511000 8005001F
	s_add_u32 m0, 0x600, s50                                   // 000000004574: 807C32FF 00000600
	v_mfma_i32_16x16x32_i8 v[140:143], a[16:17], v[232:233], v[140:143]// 00000000457C: D3D7008C 0E33D110
	v_mfma_i32_16x16x32_i8 v[140:143], a[18:19], v[234:235], v[140:143]// 000000004584: D3D7008C 0E33D512
	buffer_load_dwordx4 a[136:139], v35, s[92:95], 0 offen offset:2048// 00000000458C: E05C1800 80978823
	v_mfma_i32_16x16x32_i8 v[140:143], a[20:21], v[236:237], v[140:143]// 000000004594: D3D7008C 0E33D914
	v_mfma_i32_16x16x32_i8 v[140:143], a[22:23], v[238:239], v[140:143]// 00000000459C: D3D7008C 0E33DD16
	buffer_load_dword v32, s[20:23], 0 offen lds               // 0000000045A4: E0511000 80050020
	s_add_u32 m0, 0x700, s50                                   // 0000000045AC: 807C32FF 00000700
	v_mfma_i32_16x16x32_i8 v[140:143], a[24:25], v[240:241], v[140:143]// 0000000045B4: D3D7008C 0E33E118
	v_mfma_i32_16x16x32_i8 v[140:143], a[26:27], v[242:243], v[140:143]// 0000000045BC: D3D7008C 0E33E51A
	buffer_load_dwordx4 a[140:143], v35, s[92:95], 0 offen offset:3072// 0000000045C4: E05C1C00 80978C23
	v_mfma_i32_16x16x32_i8 v[140:143], a[28:29], v[244:245], v[140:143]// 0000000045CC: D3D7008C 0E33E91C
	v_mfma_i32_16x16x32_i8 v[140:143], a[30:31], v[246:247], v[140:143]// 0000000045D4: D3D7008C 0E33ED1E
	buffer_load_dword v33, s[20:23], 0 offen lds               // 0000000045DC: E0511000 80050021
	s_add_u32 m0, 0, s51                                       // 0000000045E4: 807C3380
	s_waitcnt vmcnt(32)                                        // 0000000045E8: BF8C8F70
	v_mfma_i32_16x16x32_i8 v[144:147], a[32:33], v[216:217], v[144:147]// 0000000045EC: D3D70090 0E43B120
	v_mfma_i32_16x16x32_i8 v[144:147], a[34:35], v[218:219], v[144:147]// 0000000045F4: D3D70090 0E43B522
	buffer_load_dwordx4 a[144:147], v36, s[92:95], 0 offen     // 0000000045FC: E05C1000 80979024
	v_mfma_i32_16x16x32_i8 v[144:147], a[36:37], v[220:221], v[144:147]// 000000004604: D3D70090 0E43B924
	v_mfma_i32_16x16x32_i8 v[144:147], a[38:39], v[222:223], v[144:147]// 00000000460C: D3D70090 0E43BD26
	v_mfma_i32_16x16x32_i8 v[144:147], a[40:41], v[224:225], v[144:147]// 000000004614: D3D70090 0E43C128
	v_mfma_i32_16x16x32_i8 v[144:147], a[42:43], v[226:227], v[144:147]// 00000000461C: D3D70090 0E43C52A
	buffer_load_dwordx4 a[148:151], v36, s[92:95], 0 offen offset:1024// 000000004624: E05C1400 80979424
	v_mfma_i32_16x16x32_i8 v[144:147], a[44:45], v[228:229], v[144:147]// 00000000462C: D3D70090 0E43C92C
	v_mfma_i32_16x16x32_i8 v[144:147], a[46:47], v[230:231], v[144:147]// 000000004634: D3D70090 0E43CD2E
	v_mfma_i32_16x16x32_i8 v[148:151], a[32:33], v[232:233], v[148:151]// 00000000463C: D3D70094 0E53D120
	v_mfma_i32_16x16x32_i8 v[148:151], a[34:35], v[234:235], v[148:151]// 000000004644: D3D70094 0E53D522
	buffer_load_dwordx4 a[152:155], v36, s[92:95], 0 offen offset:2048// 00000000464C: E05C1800 80979824
	v_mfma_i32_16x16x32_i8 v[148:151], a[36:37], v[236:237], v[148:151]// 000000004654: D3D70094 0E53D924
	v_mfma_i32_16x16x32_i8 v[148:151], a[38:39], v[238:239], v[148:151]// 00000000465C: D3D70094 0E53DD26
	v_mfma_i32_16x16x32_i8 v[148:151], a[40:41], v[240:241], v[148:151]// 000000004664: D3D70094 0E53E128
	v_mfma_i32_16x16x32_i8 v[148:151], a[42:43], v[242:243], v[148:151]// 00000000466C: D3D70094 0E53E52A
	buffer_load_dwordx4 a[156:159], v36, s[92:95], 0 offen offset:3072// 000000004674: E05C1C00 80979C24
	v_mfma_i32_16x16x32_i8 v[148:151], a[44:45], v[244:245], v[148:151]// 00000000467C: D3D70094 0E53E92C
	v_mfma_i32_16x16x32_i8 v[148:151], a[46:47], v[246:247], v[148:151]// 000000004684: D3D70094 0E53ED2E
	s_waitcnt vmcnt(32)                                        // 00000000468C: BF8C8F70
	v_mfma_i32_16x16x32_i8 v[152:155], a[48:49], v[216:217], v[152:155]// 000000004690: D3D70098 0E63B130
	v_mfma_i32_16x16x32_i8 v[152:155], a[50:51], v[218:219], v[152:155]// 000000004698: D3D70098 0E63B532
	buffer_load_dwordx4 a[160:163], v37, s[92:95], 0 offen     // 0000000046A0: E05C1000 8097A025
	v_mfma_i32_16x16x32_i8 v[152:155], a[52:53], v[220:221], v[152:155]// 0000000046A8: D3D70098 0E63B934
	v_mfma_i32_16x16x32_i8 v[152:155], a[54:55], v[222:223], v[152:155]// 0000000046B0: D3D70098 0E63BD36
	v_mfma_i32_16x16x32_i8 v[152:155], a[56:57], v[224:225], v[152:155]// 0000000046B8: D3D70098 0E63C138
	v_mfma_i32_16x16x32_i8 v[152:155], a[58:59], v[226:227], v[152:155]// 0000000046C0: D3D70098 0E63C53A
	buffer_load_dwordx4 a[164:167], v37, s[92:95], 0 offen offset:1024// 0000000046C8: E05C1400 8097A425
	v_mfma_i32_16x16x32_i8 v[152:155], a[60:61], v[228:229], v[152:155]// 0000000046D0: D3D70098 0E63C93C
	v_mfma_i32_16x16x32_i8 v[152:155], a[62:63], v[230:231], v[152:155]// 0000000046D8: D3D70098 0E63CD3E
	v_mfma_i32_16x16x32_i8 v[156:159], a[48:49], v[232:233], v[156:159]// 0000000046E0: D3D7009C 0E73D130
	v_mfma_i32_16x16x32_i8 v[156:159], a[50:51], v[234:235], v[156:159]// 0000000046E8: D3D7009C 0E73D532
	buffer_load_dwordx4 a[168:171], v37, s[92:95], 0 offen offset:2048// 0000000046F0: E05C1800 8097A825
	v_mfma_i32_16x16x32_i8 v[156:159], a[52:53], v[236:237], v[156:159]// 0000000046F8: D3D7009C 0E73D934
	v_mfma_i32_16x16x32_i8 v[156:159], a[54:55], v[238:239], v[156:159]// 000000004700: D3D7009C 0E73DD36
	v_mfma_i32_16x16x32_i8 v[156:159], a[56:57], v[240:241], v[156:159]// 000000004708: D3D7009C 0E73E138
	v_mfma_i32_16x16x32_i8 v[156:159], a[58:59], v[242:243], v[156:159]// 000000004710: D3D7009C 0E73E53A
	buffer_load_dwordx4 a[172:175], v37, s[92:95], 0 offen offset:3072// 000000004718: E05C1C00 8097AC25
	v_mfma_i32_16x16x32_i8 v[156:159], a[60:61], v[244:245], v[156:159]// 000000004720: D3D7009C 0E73E93C
	v_mfma_i32_16x16x32_i8 v[156:159], a[62:63], v[246:247], v[156:159]// 000000004728: D3D7009C 0E73ED3E
	s_waitcnt vmcnt(32)                                        // 000000004730: BF8C8F70
	v_mfma_i32_16x16x32_i8 v[160:163], a[64:65], v[216:217], v[160:163]// 000000004734: D3D700A0 0E83B140
	v_mfma_i32_16x16x32_i8 v[160:163], a[66:67], v[218:219], v[160:163]// 00000000473C: D3D700A0 0E83B542
	buffer_load_dwordx4 a[176:179], v38, s[92:95], 0 offen     // 000000004744: E05C1000 8097B026
	v_mfma_i32_16x16x32_i8 v[160:163], a[68:69], v[220:221], v[160:163]// 00000000474C: D3D700A0 0E83B944
	v_mfma_i32_16x16x32_i8 v[160:163], a[70:71], v[222:223], v[160:163]// 000000004754: D3D700A0 0E83BD46
	v_mfma_i32_16x16x32_i8 v[160:163], a[72:73], v[224:225], v[160:163]// 00000000475C: D3D700A0 0E83C148
	v_mfma_i32_16x16x32_i8 v[160:163], a[74:75], v[226:227], v[160:163]// 000000004764: D3D700A0 0E83C54A
	buffer_load_dwordx4 a[180:183], v38, s[92:95], 0 offen offset:1024// 00000000476C: E05C1400 8097B426
	v_mfma_i32_16x16x32_i8 v[160:163], a[76:77], v[228:229], v[160:163]// 000000004774: D3D700A0 0E83C94C
	v_mfma_i32_16x16x32_i8 v[160:163], a[78:79], v[230:231], v[160:163]// 00000000477C: D3D700A0 0E83CD4E
	v_mfma_i32_16x16x32_i8 v[164:167], a[64:65], v[232:233], v[164:167]// 000000004784: D3D700A4 0E93D140
	v_mfma_i32_16x16x32_i8 v[164:167], a[66:67], v[234:235], v[164:167]// 00000000478C: D3D700A4 0E93D542
	buffer_load_dwordx4 a[184:187], v38, s[92:95], 0 offen offset:2048// 000000004794: E05C1800 8097B826
	v_mfma_i32_16x16x32_i8 v[164:167], a[68:69], v[236:237], v[164:167]// 00000000479C: D3D700A4 0E93D944
	v_mfma_i32_16x16x32_i8 v[164:167], a[70:71], v[238:239], v[164:167]// 0000000047A4: D3D700A4 0E93DD46
	v_mfma_i32_16x16x32_i8 v[164:167], a[72:73], v[240:241], v[164:167]// 0000000047AC: D3D700A4 0E93E148
	v_mfma_i32_16x16x32_i8 v[164:167], a[74:75], v[242:243], v[164:167]// 0000000047B4: D3D700A4 0E93E54A
	buffer_load_dwordx4 a[188:191], v38, s[92:95], 0 offen offset:3072// 0000000047BC: E05C1C00 8097BC26
	v_mfma_i32_16x16x32_i8 v[164:167], a[76:77], v[244:245], v[164:167]// 0000000047C4: D3D700A4 0E93E94C
	v_mfma_i32_16x16x32_i8 v[164:167], a[78:79], v[246:247], v[164:167]// 0000000047CC: D3D700A4 0E93ED4E
	s_waitcnt vmcnt(32)                                        // 0000000047D4: BF8C8F70
	v_mfma_i32_16x16x32_i8 v[168:171], a[80:81], v[216:217], v[168:171]// 0000000047D8: D3D700A8 0EA3B150
	v_mfma_i32_16x16x32_i8 v[168:171], a[82:83], v[218:219], v[168:171]// 0000000047E0: D3D700A8 0EA3B552
	buffer_load_dwordx4 a[192:195], v39, s[92:95], 0 offen     // 0000000047E8: E05C1000 8097C027
	v_mfma_i32_16x16x32_i8 v[168:171], a[84:85], v[220:221], v[168:171]// 0000000047F0: D3D700A8 0EA3B954
	v_mfma_i32_16x16x32_i8 v[168:171], a[86:87], v[222:223], v[168:171]// 0000000047F8: D3D700A8 0EA3BD56
	v_mfma_i32_16x16x32_i8 v[168:171], a[88:89], v[224:225], v[168:171]// 000000004800: D3D700A8 0EA3C158
	v_mfma_i32_16x16x32_i8 v[168:171], a[90:91], v[226:227], v[168:171]// 000000004808: D3D700A8 0EA3C55A
	buffer_load_dwordx4 a[196:199], v39, s[92:95], 0 offen offset:1024// 000000004810: E05C1400 8097C427
	v_mfma_i32_16x16x32_i8 v[168:171], a[92:93], v[228:229], v[168:171]// 000000004818: D3D700A8 0EA3C95C
	v_mfma_i32_16x16x32_i8 v[168:171], a[94:95], v[230:231], v[168:171]// 000000004820: D3D700A8 0EA3CD5E
	v_mfma_i32_16x16x32_i8 v[172:175], a[80:81], v[232:233], v[172:175]// 000000004828: D3D700AC 0EB3D150
	v_mfma_i32_16x16x32_i8 v[172:175], a[82:83], v[234:235], v[172:175]// 000000004830: D3D700AC 0EB3D552
	buffer_load_dwordx4 a[200:203], v39, s[92:95], 0 offen offset:2048// 000000004838: E05C1800 8097C827
	v_mfma_i32_16x16x32_i8 v[172:175], a[84:85], v[236:237], v[172:175]// 000000004840: D3D700AC 0EB3D954
	v_mfma_i32_16x16x32_i8 v[172:175], a[86:87], v[238:239], v[172:175]// 000000004848: D3D700AC 0EB3DD56
	v_mfma_i32_16x16x32_i8 v[172:175], a[88:89], v[240:241], v[172:175]// 000000004850: D3D700AC 0EB3E158
	v_mfma_i32_16x16x32_i8 v[172:175], a[90:91], v[242:243], v[172:175]// 000000004858: D3D700AC 0EB3E55A
	buffer_load_dwordx4 a[204:207], v39, s[92:95], 0 offen offset:3072// 000000004860: E05C1C00 8097CC27
	v_mfma_i32_16x16x32_i8 v[172:175], a[92:93], v[244:245], v[172:175]// 000000004868: D3D700AC 0EB3E95C
	v_mfma_i32_16x16x32_i8 v[172:175], a[94:95], v[246:247], v[172:175]// 000000004870: D3D700AC 0EB3ED5E
	s_waitcnt vmcnt(32)                                        // 000000004878: BF8C8F70
	v_mfma_i32_16x16x32_i8 v[176:179], a[96:97], v[216:217], v[176:179]// 00000000487C: D3D700B0 0EC3B160
	v_mfma_i32_16x16x32_i8 v[176:179], a[98:99], v[218:219], v[176:179]// 000000004884: D3D700B0 0EC3B562
	buffer_load_dwordx4 a[208:211], v40, s[92:95], 0 offen     // 00000000488C: E05C1000 8097D028
	v_mfma_i32_16x16x32_i8 v[176:179], a[100:101], v[220:221], v[176:179]// 000000004894: D3D700B0 0EC3B964
	v_mfma_i32_16x16x32_i8 v[176:179], a[102:103], v[222:223], v[176:179]// 00000000489C: D3D700B0 0EC3BD66
	v_mfma_i32_16x16x32_i8 v[176:179], a[104:105], v[224:225], v[176:179]// 0000000048A4: D3D700B0 0EC3C168
	v_mfma_i32_16x16x32_i8 v[176:179], a[106:107], v[226:227], v[176:179]// 0000000048AC: D3D700B0 0EC3C56A
	buffer_load_dwordx4 a[212:215], v40, s[92:95], 0 offen offset:1024// 0000000048B4: E05C1400 8097D428
	v_mfma_i32_16x16x32_i8 v[176:179], a[108:109], v[228:229], v[176:179]// 0000000048BC: D3D700B0 0EC3C96C
	v_mfma_i32_16x16x32_i8 v[176:179], a[110:111], v[230:231], v[176:179]// 0000000048C4: D3D700B0 0EC3CD6E
	v_mfma_i32_16x16x32_i8 v[180:183], a[96:97], v[232:233], v[180:183]// 0000000048CC: D3D700B4 0ED3D160
	v_mfma_i32_16x16x32_i8 v[180:183], a[98:99], v[234:235], v[180:183]// 0000000048D4: D3D700B4 0ED3D562
	buffer_load_dwordx4 a[216:219], v40, s[92:95], 0 offen offset:2048// 0000000048DC: E05C1800 8097D828
	v_mfma_i32_16x16x32_i8 v[180:183], a[100:101], v[236:237], v[180:183]// 0000000048E4: D3D700B4 0ED3D964
	v_mfma_i32_16x16x32_i8 v[180:183], a[102:103], v[238:239], v[180:183]// 0000000048EC: D3D700B4 0ED3DD66
	v_mfma_i32_16x16x32_i8 v[180:183], a[104:105], v[240:241], v[180:183]// 0000000048F4: D3D700B4 0ED3E168
	v_mfma_i32_16x16x32_i8 v[180:183], a[106:107], v[242:243], v[180:183]// 0000000048FC: D3D700B4 0ED3E56A
	buffer_load_dwordx4 a[220:223], v40, s[92:95], 0 offen offset:3072// 000000004904: E05C1C00 8097DC28
	v_mfma_i32_16x16x32_i8 v[180:183], a[108:109], v[244:245], v[180:183]// 00000000490C: D3D700B4 0ED3E96C
	v_mfma_i32_16x16x32_i8 v[180:183], a[110:111], v[246:247], v[180:183]// 000000004914: D3D700B4 0ED3ED6E
	s_waitcnt vmcnt(20)                                        // 00000000491C: BF8C4F74
	s_barrier                                                  // 000000004920: BF8A0000
	v_mfma_i32_16x16x32_i8 v[64:67], a[112:113], v[216:217], v[64:67]// 000000004924: D3D70040 0D03B170
	v_mfma_i32_16x16x32_i8 v[64:67], a[114:115], v[218:219], v[64:67]// 00000000492C: D3D70040 0D03B572
	buffer_load_dwordx4 a[0:3], v34, s[24:27], 0 offen         // 000000004934: E05C1000 80860022
	v_mfma_i32_16x16x32_i8 v[64:67], a[116:117], v[220:221], v[64:67]// 00000000493C: D3D70040 0D03B974
	v_mfma_i32_16x16x32_i8 v[64:67], a[118:119], v[222:223], v[64:67]// 000000004944: D3D70040 0D03BD76
	v_mfma_i32_16x16x32_i8 v[64:67], a[120:121], v[224:225], v[64:67]// 00000000494C: D3D70040 0D03C178
	v_mfma_i32_16x16x32_i8 v[64:67], a[122:123], v[226:227], v[64:67]// 000000004954: D3D70040 0D03C57A
	buffer_load_dwordx4 a[4:7], v34, s[24:27], 0 offen offset:1024// 00000000495C: E05C1400 80860422
	v_mfma_i32_16x16x32_i8 v[64:67], a[124:125], v[228:229], v[64:67]// 000000004964: D3D70040 0D03C97C
	v_mfma_i32_16x16x32_i8 v[64:67], a[126:127], v[230:231], v[64:67]// 00000000496C: D3D70040 0D03CD7E
	v_mfma_i32_16x16x32_i8 v[68:71], a[112:113], v[232:233], v[68:71]// 000000004974: D3D70044 0D13D170
	v_mfma_i32_16x16x32_i8 v[68:71], a[114:115], v[234:235], v[68:71]// 00000000497C: D3D70044 0D13D572
	buffer_load_dwordx4 a[8:11], v34, s[24:27], 0 offen offset:2048// 000000004984: E05C1800 80860822
	v_mfma_i32_16x16x32_i8 v[68:71], a[116:117], v[236:237], v[68:71]// 00000000498C: D3D70044 0D13D974
	v_mfma_i32_16x16x32_i8 v[68:71], a[118:119], v[238:239], v[68:71]// 000000004994: D3D70044 0D13DD76
	v_mfma_i32_16x16x32_i8 v[68:71], a[120:121], v[240:241], v[68:71]// 00000000499C: D3D70044 0D13E178
	v_mfma_i32_16x16x32_i8 v[68:71], a[122:123], v[242:243], v[68:71]// 0000000049A4: D3D70044 0D13E57A
	buffer_load_dwordx4 a[12:15], v34, s[24:27], 0 offen offset:3072// 0000000049AC: E05C1C00 80860C22
	v_mfma_i32_16x16x32_i8 v[68:71], a[124:125], v[244:245], v[68:71]// 0000000049B4: D3D70044 0D13E97C
	v_mfma_i32_16x16x32_i8 v[68:71], a[126:127], v[246:247], v[68:71]// 0000000049BC: D3D70044 0D13ED7E
	v_mfma_i32_16x16x32_i8 v[72:75], a[128:129], v[216:217], v[72:75]// 0000000049C4: D3D70048 0D23B180
	v_mfma_i32_16x16x32_i8 v[72:75], a[130:131], v[218:219], v[72:75]// 0000000049CC: D3D70048 0D23B582
	buffer_load_dwordx4 a[16:19], v35, s[24:27], 0 offen       // 0000000049D4: E05C1000 80861023
	v_mfma_i32_16x16x32_i8 v[72:75], a[132:133], v[220:221], v[72:75]// 0000000049DC: D3D70048 0D23B984
	v_mfma_i32_16x16x32_i8 v[72:75], a[134:135], v[222:223], v[72:75]// 0000000049E4: D3D70048 0D23BD86
	v_mfma_i32_16x16x32_i8 v[72:75], a[136:137], v[224:225], v[72:75]// 0000000049EC: D3D70048 0D23C188
	v_mfma_i32_16x16x32_i8 v[72:75], a[138:139], v[226:227], v[72:75]// 0000000049F4: D3D70048 0D23C58A
	buffer_load_dwordx4 a[20:23], v35, s[24:27], 0 offen offset:1024// 0000000049FC: E05C1400 80861423
	v_mfma_i32_16x16x32_i8 v[72:75], a[140:141], v[228:229], v[72:75]// 000000004A04: D3D70048 0D23C98C
	v_mfma_i32_16x16x32_i8 v[72:75], a[142:143], v[230:231], v[72:75]// 000000004A0C: D3D70048 0D23CD8E
	v_mfma_i32_16x16x32_i8 v[76:79], a[128:129], v[232:233], v[76:79]// 000000004A14: D3D7004C 0D33D180
	v_mfma_i32_16x16x32_i8 v[76:79], a[130:131], v[234:235], v[76:79]// 000000004A1C: D3D7004C 0D33D582
	buffer_load_dwordx4 a[24:27], v35, s[24:27], 0 offen offset:2048// 000000004A24: E05C1800 80861823
	v_mfma_i32_16x16x32_i8 v[76:79], a[132:133], v[236:237], v[76:79]// 000000004A2C: D3D7004C 0D33D984
	v_mfma_i32_16x16x32_i8 v[76:79], a[134:135], v[238:239], v[76:79]// 000000004A34: D3D7004C 0D33DD86
	v_mfma_i32_16x16x32_i8 v[76:79], a[136:137], v[240:241], v[76:79]// 000000004A3C: D3D7004C 0D33E188
	v_mfma_i32_16x16x32_i8 v[76:79], a[138:139], v[242:243], v[76:79]// 000000004A44: D3D7004C 0D33E58A
	buffer_load_dwordx4 a[28:31], v35, s[24:27], 0 offen offset:3072// 000000004A4C: E05C1C00 80861C23
	v_mfma_i32_16x16x32_i8 v[76:79], a[140:141], v[244:245], v[76:79]// 000000004A54: D3D7004C 0D33E98C
	v_mfma_i32_16x16x32_i8 v[76:79], a[142:143], v[246:247], v[76:79]// 000000004A5C: D3D7004C 0D33ED8E
	s_waitcnt vmcnt(24)                                        // 000000004A64: BF8C4F78
	v_mfma_i32_16x16x32_i8 v[80:83], a[144:145], v[216:217], v[80:83]// 000000004A68: D3D70050 0D43B190
	v_mfma_i32_16x16x32_i8 v[80:83], a[146:147], v[218:219], v[80:83]// 000000004A70: D3D70050 0D43B592
	buffer_load_dwordx4 a[32:35], v36, s[24:27], 0 offen       // 000000004A78: E05C1000 80862024
	v_mfma_i32_16x16x32_i8 v[80:83], a[148:149], v[220:221], v[80:83]// 000000004A80: D3D70050 0D43B994
	v_mfma_i32_16x16x32_i8 v[80:83], a[150:151], v[222:223], v[80:83]// 000000004A88: D3D70050 0D43BD96
	ds_read_b128 v[184:187], v2                                // 000000004A90: D9FE0000 B8000002
	v_mfma_i32_16x16x32_i8 v[80:83], a[152:153], v[224:225], v[80:83]// 000000004A98: D3D70050 0D43C198
	v_mfma_i32_16x16x32_i8 v[80:83], a[154:155], v[226:227], v[80:83]// 000000004AA0: D3D70050 0D43C59A
	buffer_load_dwordx4 a[36:39], v36, s[24:27], 0 offen offset:1024// 000000004AA8: E05C1400 80862424
	v_mfma_i32_16x16x32_i8 v[80:83], a[156:157], v[228:229], v[80:83]// 000000004AB0: D3D70050 0D43C99C
	v_mfma_i32_16x16x32_i8 v[80:83], a[158:159], v[230:231], v[80:83]// 000000004AB8: D3D70050 0D43CD9E
	ds_read_b128 v[188:191], v2 offset:64                      // 000000004AC0: D9FE0040 BC000002
	v_mfma_i32_16x16x32_i8 v[84:87], a[144:145], v[232:233], v[84:87]// 000000004AC8: D3D70054 0D53D190
	v_mfma_i32_16x16x32_i8 v[84:87], a[146:147], v[234:235], v[84:87]// 000000004AD0: D3D70054 0D53D592
	buffer_load_dwordx4 a[40:43], v36, s[24:27], 0 offen offset:2048// 000000004AD8: E05C1800 80862824
	v_mfma_i32_16x16x32_i8 v[84:87], a[148:149], v[236:237], v[84:87]// 000000004AE0: D3D70054 0D53D994
	v_mfma_i32_16x16x32_i8 v[84:87], a[150:151], v[238:239], v[84:87]// 000000004AE8: D3D70054 0D53DD96
	ds_read_b128 v[192:195], v2 offset:128                     // 000000004AF0: D9FE0080 C0000002
	v_mfma_i32_16x16x32_i8 v[84:87], a[152:153], v[240:241], v[84:87]// 000000004AF8: D3D70054 0D53E198
	v_mfma_i32_16x16x32_i8 v[84:87], a[154:155], v[242:243], v[84:87]// 000000004B00: D3D70054 0D53E59A
	buffer_load_dwordx4 a[44:47], v36, s[24:27], 0 offen offset:3072// 000000004B08: E05C1C00 80862C24
	v_mfma_i32_16x16x32_i8 v[84:87], a[156:157], v[244:245], v[84:87]// 000000004B10: D3D70054 0D53E99C
	v_mfma_i32_16x16x32_i8 v[84:87], a[158:159], v[246:247], v[84:87]// 000000004B18: D3D70054 0D53ED9E
	ds_read_b128 v[196:199], v2 offset:192                     // 000000004B20: D9FE00C0 C4000002
	s_waitcnt vmcnt(24)                                        // 000000004B28: BF8C4F78
	v_mfma_i32_16x16x32_i8 v[88:91], a[160:161], v[216:217], v[88:91]// 000000004B2C: D3D70058 0D63B1A0
	v_mfma_i32_16x16x32_i8 v[88:91], a[162:163], v[218:219], v[88:91]// 000000004B34: D3D70058 0D63B5A2
	buffer_load_dwordx4 a[48:51], v37, s[24:27], 0 offen       // 000000004B3C: E05C1000 80863025
	v_mfma_i32_16x16x32_i8 v[88:91], a[164:165], v[220:221], v[88:91]// 000000004B44: D3D70058 0D63B9A4
	v_mfma_i32_16x16x32_i8 v[88:91], a[166:167], v[222:223], v[88:91]// 000000004B4C: D3D70058 0D63BDA6
	ds_read_b128 v[200:203], v2 offset:1024                    // 000000004B54: D9FE0400 C8000002
	v_mfma_i32_16x16x32_i8 v[88:91], a[168:169], v[224:225], v[88:91]// 000000004B5C: D3D70058 0D63C1A8
	v_mfma_i32_16x16x32_i8 v[88:91], a[170:171], v[226:227], v[88:91]// 000000004B64: D3D70058 0D63C5AA
	buffer_load_dwordx4 a[52:55], v37, s[24:27], 0 offen offset:1024// 000000004B6C: E05C1400 80863425
	v_mfma_i32_16x16x32_i8 v[88:91], a[172:173], v[228:229], v[88:91]// 000000004B74: D3D70058 0D63C9AC
	v_mfma_i32_16x16x32_i8 v[88:91], a[174:175], v[230:231], v[88:91]// 000000004B7C: D3D70058 0D63CDAE
	ds_read_b128 v[204:207], v2 offset:1088                    // 000000004B84: D9FE0440 CC000002
	v_mfma_i32_16x16x32_i8 v[92:95], a[160:161], v[232:233], v[92:95]// 000000004B8C: D3D7005C 0D73D1A0
	v_mfma_i32_16x16x32_i8 v[92:95], a[162:163], v[234:235], v[92:95]// 000000004B94: D3D7005C 0D73D5A2
	buffer_load_dwordx4 a[56:59], v37, s[24:27], 0 offen offset:2048// 000000004B9C: E05C1800 80863825
	v_mfma_i32_16x16x32_i8 v[92:95], a[164:165], v[236:237], v[92:95]// 000000004BA4: D3D7005C 0D73D9A4
	v_mfma_i32_16x16x32_i8 v[92:95], a[166:167], v[238:239], v[92:95]// 000000004BAC: D3D7005C 0D73DDA6
	ds_read_b128 v[208:211], v2 offset:1152                    // 000000004BB4: D9FE0480 D0000002
	v_mfma_i32_16x16x32_i8 v[92:95], a[168:169], v[240:241], v[92:95]// 000000004BBC: D3D7005C 0D73E1A8
	v_mfma_i32_16x16x32_i8 v[92:95], a[170:171], v[242:243], v[92:95]// 000000004BC4: D3D7005C 0D73E5AA
	buffer_load_dwordx4 a[60:63], v37, s[24:27], 0 offen offset:3072// 000000004BCC: E05C1C00 80863C25
	v_mfma_i32_16x16x32_i8 v[92:95], a[172:173], v[244:245], v[92:95]// 000000004BD4: D3D7005C 0D73E9AC
	v_mfma_i32_16x16x32_i8 v[92:95], a[174:175], v[246:247], v[92:95]// 000000004BDC: D3D7005C 0D73EDAE
	ds_read_b128 v[212:215], v2 offset:1216                    // 000000004BE4: D9FE04C0 D4000002
	s_waitcnt vmcnt(24)                                        // 000000004BEC: BF8C4F78
	v_mfma_i32_16x16x32_i8 v[96:99], a[176:177], v[216:217], v[96:99]// 000000004BF0: D3D70060 0D83B1B0
	v_mfma_i32_16x16x32_i8 v[96:99], a[178:179], v[218:219], v[96:99]// 000000004BF8: D3D70060 0D83B5B2
	buffer_load_dwordx4 a[64:67], v38, s[24:27], 0 offen       // 000000004C00: E05C1000 80864026
	v_mfma_i32_16x16x32_i8 v[96:99], a[180:181], v[220:221], v[96:99]// 000000004C08: D3D70060 0D83B9B4
	v_mfma_i32_16x16x32_i8 v[96:99], a[182:183], v[222:223], v[96:99]// 000000004C10: D3D70060 0D83BDB6
	v_mfma_i32_16x16x32_i8 v[96:99], a[184:185], v[224:225], v[96:99]// 000000004C18: D3D70060 0D83C1B8
	v_mfma_i32_16x16x32_i8 v[96:99], a[186:187], v[226:227], v[96:99]// 000000004C20: D3D70060 0D83C5BA
	buffer_load_dwordx4 a[68:71], v38, s[24:27], 0 offen offset:1024// 000000004C28: E05C1400 80864426
	v_mfma_i32_16x16x32_i8 v[96:99], a[188:189], v[228:229], v[96:99]// 000000004C30: D3D70060 0D83C9BC
	v_mfma_i32_16x16x32_i8 v[96:99], a[190:191], v[230:231], v[96:99]// 000000004C38: D3D70060 0D83CDBE
	v_mfma_i32_16x16x32_i8 v[100:103], a[176:177], v[232:233], v[100:103]// 000000004C40: D3D70064 0D93D1B0
	v_mfma_i32_16x16x32_i8 v[100:103], a[178:179], v[234:235], v[100:103]// 000000004C48: D3D70064 0D93D5B2
	buffer_load_dwordx4 a[72:75], v38, s[24:27], 0 offen offset:2048// 000000004C50: E05C1800 80864826
	v_mfma_i32_16x16x32_i8 v[100:103], a[180:181], v[236:237], v[100:103]// 000000004C58: D3D70064 0D93D9B4
	v_mfma_i32_16x16x32_i8 v[100:103], a[182:183], v[238:239], v[100:103]// 000000004C60: D3D70064 0D93DDB6
	v_mfma_i32_16x16x32_i8 v[100:103], a[184:185], v[240:241], v[100:103]// 000000004C68: D3D70064 0D93E1B8
	v_mfma_i32_16x16x32_i8 v[100:103], a[186:187], v[242:243], v[100:103]// 000000004C70: D3D70064 0D93E5BA
	buffer_load_dwordx4 a[76:79], v38, s[24:27], 0 offen offset:3072// 000000004C78: E05C1C00 80864C26
	v_mfma_i32_16x16x32_i8 v[100:103], a[188:189], v[244:245], v[100:103]// 000000004C80: D3D70064 0D93E9BC
	v_mfma_i32_16x16x32_i8 v[100:103], a[190:191], v[246:247], v[100:103]// 000000004C88: D3D70064 0D93EDBE
	s_waitcnt vmcnt(24)                                        // 000000004C90: BF8C4F78
	v_mfma_i32_16x16x32_i8 v[104:107], a[192:193], v[216:217], v[104:107]// 000000004C94: D3D70068 0DA3B1C0
	v_mfma_i32_16x16x32_i8 v[104:107], a[194:195], v[218:219], v[104:107]// 000000004C9C: D3D70068 0DA3B5C2
	buffer_load_dwordx4 a[80:83], v39, s[24:27], 0 offen       // 000000004CA4: E05C1000 80865027
	v_mfma_i32_16x16x32_i8 v[104:107], a[196:197], v[220:221], v[104:107]// 000000004CAC: D3D70068 0DA3B9C4
	v_mfma_i32_16x16x32_i8 v[104:107], a[198:199], v[222:223], v[104:107]// 000000004CB4: D3D70068 0DA3BDC6
	v_mfma_i32_16x16x32_i8 v[104:107], a[200:201], v[224:225], v[104:107]// 000000004CBC: D3D70068 0DA3C1C8
	v_mfma_i32_16x16x32_i8 v[104:107], a[202:203], v[226:227], v[104:107]// 000000004CC4: D3D70068 0DA3C5CA
	buffer_load_dwordx4 a[84:87], v39, s[24:27], 0 offen offset:1024// 000000004CCC: E05C1400 80865427
	v_mfma_i32_16x16x32_i8 v[104:107], a[204:205], v[228:229], v[104:107]// 000000004CD4: D3D70068 0DA3C9CC
	v_mfma_i32_16x16x32_i8 v[104:107], a[206:207], v[230:231], v[104:107]// 000000004CDC: D3D70068 0DA3CDCE
	v_mfma_i32_16x16x32_i8 v[108:111], a[192:193], v[232:233], v[108:111]// 000000004CE4: D3D7006C 0DB3D1C0
	v_mfma_i32_16x16x32_i8 v[108:111], a[194:195], v[234:235], v[108:111]// 000000004CEC: D3D7006C 0DB3D5C2
	buffer_load_dwordx4 a[88:91], v39, s[24:27], 0 offen offset:2048// 000000004CF4: E05C1800 80865827
	v_mfma_i32_16x16x32_i8 v[108:111], a[196:197], v[236:237], v[108:111]// 000000004CFC: D3D7006C 0DB3D9C4
	v_mfma_i32_16x16x32_i8 v[108:111], a[198:199], v[238:239], v[108:111]// 000000004D04: D3D7006C 0DB3DDC6
	v_mfma_i32_16x16x32_i8 v[108:111], a[200:201], v[240:241], v[108:111]// 000000004D0C: D3D7006C 0DB3E1C8
	v_mfma_i32_16x16x32_i8 v[108:111], a[202:203], v[242:243], v[108:111]// 000000004D14: D3D7006C 0DB3E5CA
	buffer_load_dwordx4 a[92:95], v39, s[24:27], 0 offen offset:3072// 000000004D1C: E05C1C00 80865C27
	v_mfma_i32_16x16x32_i8 v[108:111], a[204:205], v[244:245], v[108:111]// 000000004D24: D3D7006C 0DB3E9CC
	v_mfma_i32_16x16x32_i8 v[108:111], a[206:207], v[246:247], v[108:111]// 000000004D2C: D3D7006C 0DB3EDCE
	s_waitcnt vmcnt(24)                                        // 000000004D34: BF8C4F78
	v_mfma_i32_16x16x32_i8 v[112:115], a[208:209], v[216:217], v[112:115]// 000000004D38: D3D70070 0DC3B1D0
	v_mfma_i32_16x16x32_i8 v[112:115], a[210:211], v[218:219], v[112:115]// 000000004D40: D3D70070 0DC3B5D2
	buffer_load_dwordx4 a[96:99], v40, s[24:27], 0 offen       // 000000004D48: E05C1000 80866028
	v_mfma_i32_16x16x32_i8 v[112:115], a[212:213], v[220:221], v[112:115]// 000000004D50: D3D70070 0DC3B9D4
	v_mfma_i32_16x16x32_i8 v[112:115], a[214:215], v[222:223], v[112:115]// 000000004D58: D3D70070 0DC3BDD6
	v_mfma_i32_16x16x32_i8 v[112:115], a[216:217], v[224:225], v[112:115]// 000000004D60: D3D70070 0DC3C1D8
	v_mfma_i32_16x16x32_i8 v[112:115], a[218:219], v[226:227], v[112:115]// 000000004D68: D3D70070 0DC3C5DA
	buffer_load_dwordx4 a[100:103], v40, s[24:27], 0 offen offset:1024// 000000004D70: E05C1400 80866428
	v_mfma_i32_16x16x32_i8 v[112:115], a[220:221], v[228:229], v[112:115]// 000000004D78: D3D70070 0DC3C9DC
	v_mfma_i32_16x16x32_i8 v[112:115], a[222:223], v[230:231], v[112:115]// 000000004D80: D3D70070 0DC3CDDE
	v_mfma_i32_16x16x32_i8 v[116:119], a[208:209], v[232:233], v[116:119]// 000000004D88: D3D70074 0DD3D1D0
	v_mfma_i32_16x16x32_i8 v[116:119], a[210:211], v[234:235], v[116:119]// 000000004D90: D3D70074 0DD3D5D2
	buffer_load_dwordx4 a[104:107], v40, s[24:27], 0 offen offset:2048// 000000004D98: E05C1800 80866828
	v_mfma_i32_16x16x32_i8 v[116:119], a[212:213], v[236:237], v[116:119]// 000000004DA0: D3D70074 0DD3D9D4
	v_mfma_i32_16x16x32_i8 v[116:119], a[214:215], v[238:239], v[116:119]// 000000004DA8: D3D70074 0DD3DDD6
	v_mfma_i32_16x16x32_i8 v[116:119], a[216:217], v[240:241], v[116:119]// 000000004DB0: D3D70074 0DD3E1D8
	v_mfma_i32_16x16x32_i8 v[116:119], a[218:219], v[242:243], v[116:119]// 000000004DB8: D3D70074 0DD3E5DA
	buffer_load_dwordx4 a[108:111], v40, s[24:27], 0 offen offset:3072// 000000004DC0: E05C1C00 80866C28
	v_mfma_i32_16x16x32_i8 v[116:119], a[220:221], v[244:245], v[116:119]// 000000004DC8: D3D70074 0DD3E9DC
	v_mfma_i32_16x16x32_i8 v[116:119], a[222:223], v[246:247], v[116:119]// 000000004DD0: D3D70074 0DD3EDDE
	s_add_u32 s60, 0x200, s80                                  // 000000004DD8: 803C50FF 00000200
	s_cmp_lt_u32 s60, s81                                      // 000000004DE0: BF0A513C
	s_cselect_b32 s57, s57, 0                                  // 000000004DE4: 85398039
	s_add_u32 s60, 0x200, s80                                  // 000000004DE8: 803C50FF 00000200
	s_cmp_lt_u32 s60, s81                                      // 000000004DF0: BF0A513C
	s_cselect_b32 s58, s58, 0                                  // 000000004DF4: 853A803A
	s_add_u32 s20, s57, s20                                    // 000000004DF8: 80141439
	s_addc_u32 s21, 0, s21                                     // 000000004DFC: 82151580
	s_add_u32 s24, s58, s24                                    // 000000004E00: 8018183A
	s_addc_u32 s25, 0, s25                                     // 000000004E04: 82191980
	s_add_u32 s92, s90, s92                                    // 000000004E08: 805C5C5A
	s_addc_u32 s93, 0, s93                                     // 000000004E0C: 825D5D80
	s_addk_i32 s80, 0x100                                      // 000000004E10: B7500100
	s_cmp_lt_i32 s80, s81                                      // 000000004E14: BF045150
	s_cbranch_scc0 label_0808                                  // 000000004E18: BF840001
	s_branch label_030B                                        // 000000004E1C: BF82FB03

0000000000004e20 <label_0808>:
	s_mov_b32 s36, -1                                          // 000000004E20: BEA400C1
	s_mov_b32 s37, -1                                          // 000000004E24: BEA500C1
	s_mov_b64 s[60:61], 0                                      // 000000004E28: BEBC0180
	s_cmp_lt_u32 s82, s66                                      // 000000004E2C: BF0A4252
	s_cselect_b64 s[20:21], s[36:37], s[60:61]                 // 000000004E30: 85943C24
	s_cmp_lt_u32 s83, s66                                      // 000000004E34: BF0A4253
	s_cselect_b64 s[22:23], s[36:37], s[60:61]                 // 000000004E38: 85963C24
	s_cmp_lt_u32 s84, s66                                      // 000000004E3C: BF0A4254
	s_cselect_b64 s[24:25], s[36:37], s[60:61]                 // 000000004E40: 85983C24
	s_cmp_lt_u32 s85, s66                                      // 000000004E44: BF0A4255
	s_cselect_b64 s[26:27], s[36:37], s[60:61]                 // 000000004E48: 859A3C24
	s_cmp_lt_u32 s86, s66                                      // 000000004E4C: BF0A4256
	s_cselect_b64 s[28:29], s[36:37], s[60:61]                 // 000000004E50: 859C3C24
	s_cmp_lt_u32 s87, s66                                      // 000000004E54: BF0A4257
	s_cselect_b64 s[30:31], s[36:37], s[60:61]                 // 000000004E58: 859E3C24
	s_cmp_lt_u32 s88, s66                                      // 000000004E5C: BF0A4258
	s_cselect_b64 s[32:33], s[36:37], s[60:61]                 // 000000004E60: 85A03C24
	s_cmp_lt_u32 s89, s66                                      // 000000004E64: BF0A4259
	s_cselect_b64 s[34:35], s[36:37], s[60:61]                 // 000000004E68: 85A23C24
	v_cvt_f32_i32_e32 v128, v128                               // 000000004E6C: 7F000B80
	v_cvt_f32_i32_e32 v129, v129                               // 000000004E70: 7F020B81
	v_cvt_f32_i32_e32 v130, v130                               // 000000004E74: 7F040B82
	v_cvt_f32_i32_e32 v131, v131                               // 000000004E78: 7F060B83
	v_mul_f32_e32 v128, v14, v128                              // 000000004E7C: 0B01010E
	v_mul_f32_e32 v129, v14, v129                              // 000000004E80: 0B03030E
	v_mul_f32_e32 v130, v14, v130                              // 000000004E84: 0B05050E
	v_mul_f32_e32 v131, v14, v131                              // 000000004E88: 0B07070E
	v_mul_f32_dpp v128, v16, v128 row_newbcast:0 row_mask:0xf bank_mask:0xf// 000000004E8C: 0B0100FA FF015010
	v_mul_f32_dpp v129, v16, v129 row_newbcast:1 row_mask:0xf bank_mask:0xf// 000000004E94: 0B0302FA FF015110
	v_mul_f32_dpp v130, v16, v130 row_newbcast:2 row_mask:0xf bank_mask:0xf// 000000004E9C: 0B0504FA FF015210
	v_mul_f32_dpp v131, v16, v131 row_newbcast:3 row_mask:0xf bank_mask:0xf// 000000004EA4: 0B0706FA FF015310
	v_cvt_f32_i32_e32 v132, v132                               // 000000004EAC: 7F080B84
	v_cvt_f32_i32_e32 v133, v133                               // 000000004EB0: 7F0A0B85
	v_cvt_f32_i32_e32 v134, v134                               // 000000004EB4: 7F0C0B86
	v_cvt_f32_i32_e32 v135, v135                               // 000000004EB8: 7F0E0B87
	v_mul_f32_e32 v132, v15, v132                              // 000000004EBC: 0B09090F
	v_mul_f32_e32 v133, v15, v133                              // 000000004EC0: 0B0B0B0F
	v_mul_f32_e32 v134, v15, v134                              // 000000004EC4: 0B0D0D0F
	v_mul_f32_e32 v135, v15, v135                              // 000000004EC8: 0B0F0F0F
	v_mul_f32_dpp v132, v16, v132 row_newbcast:0 row_mask:0xf bank_mask:0xf// 000000004ECC: 0B0908FA FF015010
	v_mul_f32_dpp v133, v16, v133 row_newbcast:1 row_mask:0xf bank_mask:0xf// 000000004ED4: 0B0B0AFA FF015110
	v_mul_f32_dpp v134, v16, v134 row_newbcast:2 row_mask:0xf bank_mask:0xf// 000000004EDC: 0B0D0CFA FF015210
	v_mul_f32_dpp v135, v16, v135 row_newbcast:3 row_mask:0xf bank_mask:0xf// 000000004EE4: 0B0F0EFA FF015310
	v_cvt_f32_i32_e32 v136, v136                               // 000000004EEC: 7F100B88
	v_cvt_f32_i32_e32 v137, v137                               // 000000004EF0: 7F120B89
	v_cvt_f32_i32_e32 v138, v138                               // 000000004EF4: 7F140B8A
	v_cvt_f32_i32_e32 v139, v139                               // 000000004EF8: 7F160B8B
	v_mul_f32_e32 v136, v14, v136                              // 000000004EFC: 0B11110E
	v_mul_f32_e32 v137, v14, v137                              // 000000004F00: 0B13130E
	v_mul_f32_e32 v138, v14, v138                              // 000000004F04: 0B15150E
	v_mul_f32_e32 v139, v14, v139                              // 000000004F08: 0B17170E
	v_mul_f32_dpp v136, v16, v136 row_newbcast:4 row_mask:0xf bank_mask:0xf// 000000004F0C: 0B1110FA FF015410
	v_mul_f32_dpp v137, v16, v137 row_newbcast:5 row_mask:0xf bank_mask:0xf// 000000004F14: 0B1312FA FF015510
	v_mul_f32_dpp v138, v16, v138 row_newbcast:6 row_mask:0xf bank_mask:0xf// 000000004F1C: 0B1514FA FF015610
	v_mul_f32_dpp v139, v16, v139 row_newbcast:7 row_mask:0xf bank_mask:0xf// 000000004F24: 0B1716FA FF015710
	v_cvt_f32_i32_e32 v140, v140                               // 000000004F2C: 7F180B8C
	v_cvt_f32_i32_e32 v141, v141                               // 000000004F30: 7F1A0B8D
	v_cvt_f32_i32_e32 v142, v142                               // 000000004F34: 7F1C0B8E
	v_cvt_f32_i32_e32 v143, v143                               // 000000004F38: 7F1E0B8F
	v_mul_f32_e32 v140, v15, v140                              // 000000004F3C: 0B19190F
	v_mul_f32_e32 v141, v15, v141                              // 000000004F40: 0B1B1B0F
	v_mul_f32_e32 v142, v15, v142                              // 000000004F44: 0B1D1D0F
	v_mul_f32_e32 v143, v15, v143                              // 000000004F48: 0B1F1F0F
	v_mul_f32_dpp v140, v16, v140 row_newbcast:4 row_mask:0xf bank_mask:0xf// 000000004F4C: 0B1918FA FF015410
	v_mul_f32_dpp v141, v16, v141 row_newbcast:5 row_mask:0xf bank_mask:0xf// 000000004F54: 0B1B1AFA FF015510
	v_mul_f32_dpp v142, v16, v142 row_newbcast:6 row_mask:0xf bank_mask:0xf// 000000004F5C: 0B1D1CFA FF015610
	v_mul_f32_dpp v143, v16, v143 row_newbcast:7 row_mask:0xf bank_mask:0xf// 000000004F64: 0B1F1EFA FF015710
	v_cvt_f32_i32_e32 v144, v144                               // 000000004F6C: 7F200B90
	v_cvt_f32_i32_e32 v145, v145                               // 000000004F70: 7F220B91
	v_cvt_f32_i32_e32 v146, v146                               // 000000004F74: 7F240B92
	v_cvt_f32_i32_e32 v147, v147                               // 000000004F78: 7F260B93
	v_mul_f32_e32 v144, v14, v144                              // 000000004F7C: 0B21210E
	v_mul_f32_e32 v145, v14, v145                              // 000000004F80: 0B23230E
	v_mul_f32_e32 v146, v14, v146                              // 000000004F84: 0B25250E
	v_mul_f32_e32 v147, v14, v147                              // 000000004F88: 0B27270E
	v_mul_f32_dpp v144, v16, v144 row_newbcast:8 row_mask:0xf bank_mask:0xf// 000000004F8C: 0B2120FA FF015810
	v_mul_f32_dpp v145, v16, v145 row_newbcast:9 row_mask:0xf bank_mask:0xf// 000000004F94: 0B2322FA FF015910
	v_mul_f32_dpp v146, v16, v146 row_newbcast:10 row_mask:0xf bank_mask:0xf// 000000004F9C: 0B2524FA FF015A10
	v_mul_f32_dpp v147, v16, v147 row_newbcast:11 row_mask:0xf bank_mask:0xf// 000000004FA4: 0B2726FA FF015B10
	v_cvt_f32_i32_e32 v148, v148                               // 000000004FAC: 7F280B94
	v_cvt_f32_i32_e32 v149, v149                               // 000000004FB0: 7F2A0B95
	v_cvt_f32_i32_e32 v150, v150                               // 000000004FB4: 7F2C0B96
	v_cvt_f32_i32_e32 v151, v151                               // 000000004FB8: 7F2E0B97
	v_mul_f32_e32 v148, v15, v148                              // 000000004FBC: 0B29290F
	v_mul_f32_e32 v149, v15, v149                              // 000000004FC0: 0B2B2B0F
	v_mul_f32_e32 v150, v15, v150                              // 000000004FC4: 0B2D2D0F
	v_mul_f32_e32 v151, v15, v151                              // 000000004FC8: 0B2F2F0F
	v_mul_f32_dpp v148, v16, v148 row_newbcast:8 row_mask:0xf bank_mask:0xf// 000000004FCC: 0B2928FA FF015810
	v_mul_f32_dpp v149, v16, v149 row_newbcast:9 row_mask:0xf bank_mask:0xf// 000000004FD4: 0B2B2AFA FF015910
	v_mul_f32_dpp v150, v16, v150 row_newbcast:10 row_mask:0xf bank_mask:0xf// 000000004FDC: 0B2D2CFA FF015A10
	v_mul_f32_dpp v151, v16, v151 row_newbcast:11 row_mask:0xf bank_mask:0xf// 000000004FE4: 0B2F2EFA FF015B10
	v_cvt_f32_i32_e32 v152, v152                               // 000000004FEC: 7F300B98
	v_cvt_f32_i32_e32 v153, v153                               // 000000004FF0: 7F320B99
	v_cvt_f32_i32_e32 v154, v154                               // 000000004FF4: 7F340B9A
	v_cvt_f32_i32_e32 v155, v155                               // 000000004FF8: 7F360B9B
	v_mul_f32_e32 v152, v14, v152                              // 000000004FFC: 0B31310E
	v_mul_f32_e32 v153, v14, v153                              // 000000005000: 0B33330E
	v_mul_f32_e32 v154, v14, v154                              // 000000005004: 0B35350E
	v_mul_f32_e32 v155, v14, v155                              // 000000005008: 0B37370E
	v_mul_f32_dpp v152, v16, v152 row_newbcast:12 row_mask:0xf bank_mask:0xf// 00000000500C: 0B3130FA FF015C10
	v_mul_f32_dpp v153, v16, v153 row_newbcast:13 row_mask:0xf bank_mask:0xf// 000000005014: 0B3332FA FF015D10
	v_mul_f32_dpp v154, v16, v154 row_newbcast:14 row_mask:0xf bank_mask:0xf// 00000000501C: 0B3534FA FF015E10
	v_mul_f32_dpp v155, v16, v155 row_newbcast:15 row_mask:0xf bank_mask:0xf// 000000005024: 0B3736FA FF015F10
	v_cvt_f32_i32_e32 v156, v156                               // 00000000502C: 7F380B9C
	v_cvt_f32_i32_e32 v157, v157                               // 000000005030: 7F3A0B9D
	v_cvt_f32_i32_e32 v158, v158                               // 000000005034: 7F3C0B9E
	v_cvt_f32_i32_e32 v159, v159                               // 000000005038: 7F3E0B9F
	v_mul_f32_e32 v156, v15, v156                              // 00000000503C: 0B39390F
	v_mul_f32_e32 v157, v15, v157                              // 000000005040: 0B3B3B0F
	v_mul_f32_e32 v158, v15, v158                              // 000000005044: 0B3D3D0F
	v_mul_f32_e32 v159, v15, v159                              // 000000005048: 0B3F3F0F
	v_mul_f32_dpp v156, v16, v156 row_newbcast:12 row_mask:0xf bank_mask:0xf// 00000000504C: 0B3938FA FF015C10
	v_mul_f32_dpp v157, v16, v157 row_newbcast:13 row_mask:0xf bank_mask:0xf// 000000005054: 0B3B3AFA FF015D10
	v_mul_f32_dpp v158, v16, v158 row_newbcast:14 row_mask:0xf bank_mask:0xf// 00000000505C: 0B3D3CFA FF015E10
	v_mul_f32_dpp v159, v16, v159 row_newbcast:15 row_mask:0xf bank_mask:0xf// 000000005064: 0B3F3EFA FF015F10
	v_cvt_f32_i32_e32 v160, v160                               // 00000000506C: 7F400BA0
	v_cvt_f32_i32_e32 v161, v161                               // 000000005070: 7F420BA1
	v_cvt_f32_i32_e32 v162, v162                               // 000000005074: 7F440BA2
	v_cvt_f32_i32_e32 v163, v163                               // 000000005078: 7F460BA3
	v_mul_f32_e32 v160, v14, v160                              // 00000000507C: 0B41410E
	v_mul_f32_e32 v161, v14, v161                              // 000000005080: 0B43430E
	v_mul_f32_e32 v162, v14, v162                              // 000000005084: 0B45450E
	v_mul_f32_e32 v163, v14, v163                              // 000000005088: 0B47470E
	v_mul_f32_dpp v160, v17, v160 row_newbcast:0 row_mask:0xf bank_mask:0xf// 00000000508C: 0B4140FA FF015011
	v_mul_f32_dpp v161, v17, v161 row_newbcast:1 row_mask:0xf bank_mask:0xf// 000000005094: 0B4342FA FF015111
	v_mul_f32_dpp v162, v17, v162 row_newbcast:2 row_mask:0xf bank_mask:0xf// 00000000509C: 0B4544FA FF015211
	v_mul_f32_dpp v163, v17, v163 row_newbcast:3 row_mask:0xf bank_mask:0xf// 0000000050A4: 0B4746FA FF015311
	v_cvt_f32_i32_e32 v164, v164                               // 0000000050AC: 7F480BA4
	v_cvt_f32_i32_e32 v165, v165                               // 0000000050B0: 7F4A0BA5
	v_cvt_f32_i32_e32 v166, v166                               // 0000000050B4: 7F4C0BA6
	v_cvt_f32_i32_e32 v167, v167                               // 0000000050B8: 7F4E0BA7
	v_mul_f32_e32 v164, v15, v164                              // 0000000050BC: 0B49490F
	v_mul_f32_e32 v165, v15, v165                              // 0000000050C0: 0B4B4B0F
	v_mul_f32_e32 v166, v15, v166                              // 0000000050C4: 0B4D4D0F
	v_mul_f32_e32 v167, v15, v167                              // 0000000050C8: 0B4F4F0F
	v_mul_f32_dpp v164, v17, v164 row_newbcast:0 row_mask:0xf bank_mask:0xf// 0000000050CC: 0B4948FA FF015011
	v_mul_f32_dpp v165, v17, v165 row_newbcast:1 row_mask:0xf bank_mask:0xf// 0000000050D4: 0B4B4AFA FF015111
	v_mul_f32_dpp v166, v17, v166 row_newbcast:2 row_mask:0xf bank_mask:0xf// 0000000050DC: 0B4D4CFA FF015211
	v_mul_f32_dpp v167, v17, v167 row_newbcast:3 row_mask:0xf bank_mask:0xf// 0000000050E4: 0B4F4EFA FF015311
	v_cvt_f32_i32_e32 v168, v168                               // 0000000050EC: 7F500BA8
	v_cvt_f32_i32_e32 v169, v169                               // 0000000050F0: 7F520BA9
	v_cvt_f32_i32_e32 v170, v170                               // 0000000050F4: 7F540BAA
	v_cvt_f32_i32_e32 v171, v171                               // 0000000050F8: 7F560BAB
	v_mul_f32_e32 v168, v14, v168                              // 0000000050FC: 0B51510E
	v_mul_f32_e32 v169, v14, v169                              // 000000005100: 0B53530E
	v_mul_f32_e32 v170, v14, v170                              // 000000005104: 0B55550E
	v_mul_f32_e32 v171, v14, v171                              // 000000005108: 0B57570E
	v_mul_f32_dpp v168, v17, v168 row_newbcast:4 row_mask:0xf bank_mask:0xf// 00000000510C: 0B5150FA FF015411
	v_mul_f32_dpp v169, v17, v169 row_newbcast:5 row_mask:0xf bank_mask:0xf// 000000005114: 0B5352FA FF015511
	v_mul_f32_dpp v170, v17, v170 row_newbcast:6 row_mask:0xf bank_mask:0xf// 00000000511C: 0B5554FA FF015611
	v_mul_f32_dpp v171, v17, v171 row_newbcast:7 row_mask:0xf bank_mask:0xf// 000000005124: 0B5756FA FF015711
	v_cvt_f32_i32_e32 v172, v172                               // 00000000512C: 7F580BAC
	v_cvt_f32_i32_e32 v173, v173                               // 000000005130: 7F5A0BAD
	v_cvt_f32_i32_e32 v174, v174                               // 000000005134: 7F5C0BAE
	v_cvt_f32_i32_e32 v175, v175                               // 000000005138: 7F5E0BAF
	v_mul_f32_e32 v172, v15, v172                              // 00000000513C: 0B59590F
	v_mul_f32_e32 v173, v15, v173                              // 000000005140: 0B5B5B0F
	v_mul_f32_e32 v174, v15, v174                              // 000000005144: 0B5D5D0F
	v_mul_f32_e32 v175, v15, v175                              // 000000005148: 0B5F5F0F
	v_mul_f32_dpp v172, v17, v172 row_newbcast:4 row_mask:0xf bank_mask:0xf// 00000000514C: 0B5958FA FF015411
	v_mul_f32_dpp v173, v17, v173 row_newbcast:5 row_mask:0xf bank_mask:0xf// 000000005154: 0B5B5AFA FF015511
	v_mul_f32_dpp v174, v17, v174 row_newbcast:6 row_mask:0xf bank_mask:0xf// 00000000515C: 0B5D5CFA FF015611
	v_mul_f32_dpp v175, v17, v175 row_newbcast:7 row_mask:0xf bank_mask:0xf// 000000005164: 0B5F5EFA FF015711
	v_cvt_f32_i32_e32 v176, v176                               // 00000000516C: 7F600BB0
	v_cvt_f32_i32_e32 v177, v177                               // 000000005170: 7F620BB1
	v_cvt_f32_i32_e32 v178, v178                               // 000000005174: 7F640BB2
	v_cvt_f32_i32_e32 v179, v179                               // 000000005178: 7F660BB3
	v_mul_f32_e32 v176, v14, v176                              // 00000000517C: 0B61610E
	v_mul_f32_e32 v177, v14, v177                              // 000000005180: 0B63630E
	v_mul_f32_e32 v178, v14, v178                              // 000000005184: 0B65650E
	v_mul_f32_e32 v179, v14, v179                              // 000000005188: 0B67670E
	v_mul_f32_dpp v176, v17, v176 row_newbcast:8 row_mask:0xf bank_mask:0xf// 00000000518C: 0B6160FA FF015811
	v_mul_f32_dpp v177, v17, v177 row_newbcast:9 row_mask:0xf bank_mask:0xf// 000000005194: 0B6362FA FF015911
	v_mul_f32_dpp v178, v17, v178 row_newbcast:10 row_mask:0xf bank_mask:0xf// 00000000519C: 0B6564FA FF015A11
	v_mul_f32_dpp v179, v17, v179 row_newbcast:11 row_mask:0xf bank_mask:0xf// 0000000051A4: 0B6766FA FF015B11
	v_cvt_f32_i32_e32 v180, v180                               // 0000000051AC: 7F680BB4
	v_cvt_f32_i32_e32 v181, v181                               // 0000000051B0: 7F6A0BB5
	v_cvt_f32_i32_e32 v182, v182                               // 0000000051B4: 7F6C0BB6
	v_cvt_f32_i32_e32 v183, v183                               // 0000000051B8: 7F6E0BB7
	v_mul_f32_e32 v180, v15, v180                              // 0000000051BC: 0B69690F
	v_mul_f32_e32 v181, v15, v181                              // 0000000051C0: 0B6B6B0F
	v_mul_f32_e32 v182, v15, v182                              // 0000000051C4: 0B6D6D0F
	v_mul_f32_e32 v183, v15, v183                              // 0000000051C8: 0B6F6F0F
	v_mul_f32_dpp v180, v17, v180 row_newbcast:8 row_mask:0xf bank_mask:0xf// 0000000051CC: 0B6968FA FF015811
	v_mul_f32_dpp v181, v17, v181 row_newbcast:9 row_mask:0xf bank_mask:0xf// 0000000051D4: 0B6B6AFA FF015911
	v_mul_f32_dpp v182, v17, v182 row_newbcast:10 row_mask:0xf bank_mask:0xf// 0000000051DC: 0B6D6CFA FF015A11
	v_mul_f32_dpp v183, v17, v183 row_newbcast:11 row_mask:0xf bank_mask:0xf// 0000000051E4: 0B6F6EFA FF015B11
	v_cvt_f32_i32_e32 v64, v64                                 // 0000000051EC: 7E800B40
	v_cvt_f32_i32_e32 v65, v65                                 // 0000000051F0: 7E820B41
	v_cvt_f32_i32_e32 v66, v66                                 // 0000000051F4: 7E840B42
	v_cvt_f32_i32_e32 v67, v67                                 // 0000000051F8: 7E860B43
	v_mul_f32_e32 v64, v14, v64                                // 0000000051FC: 0A80810E
	v_mul_f32_e32 v65, v14, v65                                // 000000005200: 0A82830E
	v_mul_f32_e32 v66, v14, v66                                // 000000005204: 0A84850E
	v_mul_f32_e32 v67, v14, v67                                // 000000005208: 0A86870E
	v_mul_f32_dpp v64, v49, v64 row_newbcast:0 row_mask:0xf bank_mask:0xf// 00000000520C: 0A8080FA FF015031
	v_mul_f32_dpp v65, v49, v65 row_newbcast:1 row_mask:0xf bank_mask:0xf// 000000005214: 0A8282FA FF015131
	v_mul_f32_dpp v66, v49, v66 row_newbcast:2 row_mask:0xf bank_mask:0xf// 00000000521C: 0A8484FA FF015231
	v_mul_f32_dpp v67, v49, v67 row_newbcast:3 row_mask:0xf bank_mask:0xf// 000000005224: 0A8686FA FF015331
	v_cvt_f32_i32_e32 v68, v68                                 // 00000000522C: 7E880B44
	v_cvt_f32_i32_e32 v69, v69                                 // 000000005230: 7E8A0B45
	v_cvt_f32_i32_e32 v70, v70                                 // 000000005234: 7E8C0B46
	v_cvt_f32_i32_e32 v71, v71                                 // 000000005238: 7E8E0B47
	v_mul_f32_e32 v68, v15, v68                                // 00000000523C: 0A88890F
	v_mul_f32_e32 v69, v15, v69                                // 000000005240: 0A8A8B0F
	v_mul_f32_e32 v70, v15, v70                                // 000000005244: 0A8C8D0F
	v_mul_f32_e32 v71, v15, v71                                // 000000005248: 0A8E8F0F
	v_mul_f32_dpp v68, v49, v68 row_newbcast:0 row_mask:0xf bank_mask:0xf// 00000000524C: 0A8888FA FF015031
	v_mul_f32_dpp v69, v49, v69 row_newbcast:1 row_mask:0xf bank_mask:0xf// 000000005254: 0A8A8AFA FF015131
	v_mul_f32_dpp v70, v49, v70 row_newbcast:2 row_mask:0xf bank_mask:0xf// 00000000525C: 0A8C8CFA FF015231
	v_mul_f32_dpp v71, v49, v71 row_newbcast:3 row_mask:0xf bank_mask:0xf// 000000005264: 0A8E8EFA FF015331
	v_cvt_f32_i32_e32 v72, v72                                 // 00000000526C: 7E900B48
	v_cvt_f32_i32_e32 v73, v73                                 // 000000005270: 7E920B49
	v_cvt_f32_i32_e32 v74, v74                                 // 000000005274: 7E940B4A
	v_cvt_f32_i32_e32 v75, v75                                 // 000000005278: 7E960B4B
	v_mul_f32_e32 v72, v14, v72                                // 00000000527C: 0A90910E
	v_mul_f32_e32 v73, v14, v73                                // 000000005280: 0A92930E
	v_mul_f32_e32 v74, v14, v74                                // 000000005284: 0A94950E
	v_mul_f32_e32 v75, v14, v75                                // 000000005288: 0A96970E
	v_mul_f32_dpp v72, v49, v72 row_newbcast:4 row_mask:0xf bank_mask:0xf// 00000000528C: 0A9090FA FF015431
	v_mul_f32_dpp v73, v49, v73 row_newbcast:5 row_mask:0xf bank_mask:0xf// 000000005294: 0A9292FA FF015531
	v_mul_f32_dpp v74, v49, v74 row_newbcast:6 row_mask:0xf bank_mask:0xf// 00000000529C: 0A9494FA FF015631
	v_mul_f32_dpp v75, v49, v75 row_newbcast:7 row_mask:0xf bank_mask:0xf// 0000000052A4: 0A9696FA FF015731
	v_cvt_f32_i32_e32 v76, v76                                 // 0000000052AC: 7E980B4C
	v_cvt_f32_i32_e32 v77, v77                                 // 0000000052B0: 7E9A0B4D
	v_cvt_f32_i32_e32 v78, v78                                 // 0000000052B4: 7E9C0B4E
	v_cvt_f32_i32_e32 v79, v79                                 // 0000000052B8: 7E9E0B4F
	v_mul_f32_e32 v76, v15, v76                                // 0000000052BC: 0A98990F
	v_mul_f32_e32 v77, v15, v77                                // 0000000052C0: 0A9A9B0F
	v_mul_f32_e32 v78, v15, v78                                // 0000000052C4: 0A9C9D0F
	v_mul_f32_e32 v79, v15, v79                                // 0000000052C8: 0A9E9F0F
	v_mul_f32_dpp v76, v49, v76 row_newbcast:4 row_mask:0xf bank_mask:0xf// 0000000052CC: 0A9898FA FF015431
	v_mul_f32_dpp v77, v49, v77 row_newbcast:5 row_mask:0xf bank_mask:0xf// 0000000052D4: 0A9A9AFA FF015531
	v_mul_f32_dpp v78, v49, v78 row_newbcast:6 row_mask:0xf bank_mask:0xf// 0000000052DC: 0A9C9CFA FF015631
	v_mul_f32_dpp v79, v49, v79 row_newbcast:7 row_mask:0xf bank_mask:0xf// 0000000052E4: 0A9E9EFA FF015731
	v_cvt_f32_i32_e32 v80, v80                                 // 0000000052EC: 7EA00B50
	v_cvt_f32_i32_e32 v81, v81                                 // 0000000052F0: 7EA20B51
	v_cvt_f32_i32_e32 v82, v82                                 // 0000000052F4: 7EA40B52
	v_cvt_f32_i32_e32 v83, v83                                 // 0000000052F8: 7EA60B53
	v_mul_f32_e32 v80, v14, v80                                // 0000000052FC: 0AA0A10E
	v_mul_f32_e32 v81, v14, v81                                // 000000005300: 0AA2A30E
	v_mul_f32_e32 v82, v14, v82                                // 000000005304: 0AA4A50E
	v_mul_f32_e32 v83, v14, v83                                // 000000005308: 0AA6A70E
	v_mul_f32_dpp v80, v49, v80 row_newbcast:8 row_mask:0xf bank_mask:0xf// 00000000530C: 0AA0A0FA FF015831
	v_mul_f32_dpp v81, v49, v81 row_newbcast:9 row_mask:0xf bank_mask:0xf// 000000005314: 0AA2A2FA FF015931
	v_mul_f32_dpp v82, v49, v82 row_newbcast:10 row_mask:0xf bank_mask:0xf// 00000000531C: 0AA4A4FA FF015A31
	v_mul_f32_dpp v83, v49, v83 row_newbcast:11 row_mask:0xf bank_mask:0xf// 000000005324: 0AA6A6FA FF015B31
	v_cvt_f32_i32_e32 v84, v84                                 // 00000000532C: 7EA80B54
	v_cvt_f32_i32_e32 v85, v85                                 // 000000005330: 7EAA0B55
	v_cvt_f32_i32_e32 v86, v86                                 // 000000005334: 7EAC0B56
	v_cvt_f32_i32_e32 v87, v87                                 // 000000005338: 7EAE0B57
	v_mul_f32_e32 v84, v15, v84                                // 00000000533C: 0AA8A90F
	v_mul_f32_e32 v85, v15, v85                                // 000000005340: 0AAAAB0F
	v_mul_f32_e32 v86, v15, v86                                // 000000005344: 0AACAD0F
	v_mul_f32_e32 v87, v15, v87                                // 000000005348: 0AAEAF0F
	v_mul_f32_dpp v84, v49, v84 row_newbcast:8 row_mask:0xf bank_mask:0xf// 00000000534C: 0AA8A8FA FF015831
	v_mul_f32_dpp v85, v49, v85 row_newbcast:9 row_mask:0xf bank_mask:0xf// 000000005354: 0AAAAAFA FF015931
	v_mul_f32_dpp v86, v49, v86 row_newbcast:10 row_mask:0xf bank_mask:0xf// 00000000535C: 0AACACFA FF015A31
	v_mul_f32_dpp v87, v49, v87 row_newbcast:11 row_mask:0xf bank_mask:0xf// 000000005364: 0AAEAEFA FF015B31
	v_cvt_f32_i32_e32 v88, v88                                 // 00000000536C: 7EB00B58
	v_cvt_f32_i32_e32 v89, v89                                 // 000000005370: 7EB20B59
	v_cvt_f32_i32_e32 v90, v90                                 // 000000005374: 7EB40B5A
	v_cvt_f32_i32_e32 v91, v91                                 // 000000005378: 7EB60B5B
	v_mul_f32_e32 v88, v14, v88                                // 00000000537C: 0AB0B10E
	v_mul_f32_e32 v89, v14, v89                                // 000000005380: 0AB2B30E
	v_mul_f32_e32 v90, v14, v90                                // 000000005384: 0AB4B50E
	v_mul_f32_e32 v91, v14, v91                                // 000000005388: 0AB6B70E
	v_mul_f32_dpp v88, v49, v88 row_newbcast:12 row_mask:0xf bank_mask:0xf// 00000000538C: 0AB0B0FA FF015C31
	v_mul_f32_dpp v89, v49, v89 row_newbcast:13 row_mask:0xf bank_mask:0xf// 000000005394: 0AB2B2FA FF015D31
	v_mul_f32_dpp v90, v49, v90 row_newbcast:14 row_mask:0xf bank_mask:0xf// 00000000539C: 0AB4B4FA FF015E31
	v_mul_f32_dpp v91, v49, v91 row_newbcast:15 row_mask:0xf bank_mask:0xf// 0000000053A4: 0AB6B6FA FF015F31
	v_cvt_f32_i32_e32 v92, v92                                 // 0000000053AC: 7EB80B5C
	v_cvt_f32_i32_e32 v93, v93                                 // 0000000053B0: 7EBA0B5D
	v_cvt_f32_i32_e32 v94, v94                                 // 0000000053B4: 7EBC0B5E
	v_cvt_f32_i32_e32 v95, v95                                 // 0000000053B8: 7EBE0B5F
	v_mul_f32_e32 v92, v15, v92                                // 0000000053BC: 0AB8B90F
	v_mul_f32_e32 v93, v15, v93                                // 0000000053C0: 0ABABB0F
	v_mul_f32_e32 v94, v15, v94                                // 0000000053C4: 0ABCBD0F
	v_mul_f32_e32 v95, v15, v95                                // 0000000053C8: 0ABEBF0F
	v_mul_f32_dpp v92, v49, v92 row_newbcast:12 row_mask:0xf bank_mask:0xf// 0000000053CC: 0AB8B8FA FF015C31
	v_mul_f32_dpp v93, v49, v93 row_newbcast:13 row_mask:0xf bank_mask:0xf// 0000000053D4: 0ABABAFA FF015D31
	v_mul_f32_dpp v94, v49, v94 row_newbcast:14 row_mask:0xf bank_mask:0xf// 0000000053DC: 0ABCBCFA FF015E31
	v_mul_f32_dpp v95, v49, v95 row_newbcast:15 row_mask:0xf bank_mask:0xf// 0000000053E4: 0ABEBEFA FF015F31
	v_cvt_f32_i32_e32 v96, v96                                 // 0000000053EC: 7EC00B60
	v_cvt_f32_i32_e32 v97, v97                                 // 0000000053F0: 7EC20B61
	v_cvt_f32_i32_e32 v98, v98                                 // 0000000053F4: 7EC40B62
	v_cvt_f32_i32_e32 v99, v99                                 // 0000000053F8: 7EC60B63
	v_mul_f32_e32 v96, v14, v96                                // 0000000053FC: 0AC0C10E
	v_mul_f32_e32 v97, v14, v97                                // 000000005400: 0AC2C30E
	v_mul_f32_e32 v98, v14, v98                                // 000000005404: 0AC4C50E
	v_mul_f32_e32 v99, v14, v99                                // 000000005408: 0AC6C70E
	v_mul_f32_dpp v96, v50, v96 row_newbcast:0 row_mask:0xf bank_mask:0xf// 00000000540C: 0AC0C0FA FF015032
	v_mul_f32_dpp v97, v50, v97 row_newbcast:1 row_mask:0xf bank_mask:0xf// 000000005414: 0AC2C2FA FF015132
	v_mul_f32_dpp v98, v50, v98 row_newbcast:2 row_mask:0xf bank_mask:0xf// 00000000541C: 0AC4C4FA FF015232
	v_mul_f32_dpp v99, v50, v99 row_newbcast:3 row_mask:0xf bank_mask:0xf// 000000005424: 0AC6C6FA FF015332
	v_cvt_f32_i32_e32 v100, v100                               // 00000000542C: 7EC80B64
	v_cvt_f32_i32_e32 v101, v101                               // 000000005430: 7ECA0B65
	v_cvt_f32_i32_e32 v102, v102                               // 000000005434: 7ECC0B66
	v_cvt_f32_i32_e32 v103, v103                               // 000000005438: 7ECE0B67
	v_mul_f32_e32 v100, v15, v100                              // 00000000543C: 0AC8C90F
	v_mul_f32_e32 v101, v15, v101                              // 000000005440: 0ACACB0F
	v_mul_f32_e32 v102, v15, v102                              // 000000005444: 0ACCCD0F
	v_mul_f32_e32 v103, v15, v103                              // 000000005448: 0ACECF0F
	v_mul_f32_dpp v100, v50, v100 row_newbcast:0 row_mask:0xf bank_mask:0xf// 00000000544C: 0AC8C8FA FF015032
	v_mul_f32_dpp v101, v50, v101 row_newbcast:1 row_mask:0xf bank_mask:0xf// 000000005454: 0ACACAFA FF015132
	v_mul_f32_dpp v102, v50, v102 row_newbcast:2 row_mask:0xf bank_mask:0xf// 00000000545C: 0ACCCCFA FF015232
	v_mul_f32_dpp v103, v50, v103 row_newbcast:3 row_mask:0xf bank_mask:0xf// 000000005464: 0ACECEFA FF015332
	v_cvt_f32_i32_e32 v104, v104                               // 00000000546C: 7ED00B68
	v_cvt_f32_i32_e32 v105, v105                               // 000000005470: 7ED20B69
	v_cvt_f32_i32_e32 v106, v106                               // 000000005474: 7ED40B6A
	v_cvt_f32_i32_e32 v107, v107                               // 000000005478: 7ED60B6B
	v_mul_f32_e32 v104, v14, v104                              // 00000000547C: 0AD0D10E
	v_mul_f32_e32 v105, v14, v105                              // 000000005480: 0AD2D30E
	v_mul_f32_e32 v106, v14, v106                              // 000000005484: 0AD4D50E
	v_mul_f32_e32 v107, v14, v107                              // 000000005488: 0AD6D70E
	v_mul_f32_dpp v104, v50, v104 row_newbcast:4 row_mask:0xf bank_mask:0xf// 00000000548C: 0AD0D0FA FF015432
	v_mul_f32_dpp v105, v50, v105 row_newbcast:5 row_mask:0xf bank_mask:0xf// 000000005494: 0AD2D2FA FF015532
	v_mul_f32_dpp v106, v50, v106 row_newbcast:6 row_mask:0xf bank_mask:0xf// 00000000549C: 0AD4D4FA FF015632
	v_mul_f32_dpp v107, v50, v107 row_newbcast:7 row_mask:0xf bank_mask:0xf// 0000000054A4: 0AD6D6FA FF015732
	v_cvt_f32_i32_e32 v108, v108                               // 0000000054AC: 7ED80B6C
	v_cvt_f32_i32_e32 v109, v109                               // 0000000054B0: 7EDA0B6D
	v_cvt_f32_i32_e32 v110, v110                               // 0000000054B4: 7EDC0B6E
	v_cvt_f32_i32_e32 v111, v111                               // 0000000054B8: 7EDE0B6F
	v_mul_f32_e32 v108, v15, v108                              // 0000000054BC: 0AD8D90F
	v_mul_f32_e32 v109, v15, v109                              // 0000000054C0: 0ADADB0F
	v_mul_f32_e32 v110, v15, v110                              // 0000000054C4: 0ADCDD0F
	v_mul_f32_e32 v111, v15, v111                              // 0000000054C8: 0ADEDF0F
	v_mul_f32_dpp v108, v50, v108 row_newbcast:4 row_mask:0xf bank_mask:0xf// 0000000054CC: 0AD8D8FA FF015432
	v_mul_f32_dpp v109, v50, v109 row_newbcast:5 row_mask:0xf bank_mask:0xf// 0000000054D4: 0ADADAFA FF015532
	v_mul_f32_dpp v110, v50, v110 row_newbcast:6 row_mask:0xf bank_mask:0xf// 0000000054DC: 0ADCDCFA FF015632
	v_mul_f32_dpp v111, v50, v111 row_newbcast:7 row_mask:0xf bank_mask:0xf// 0000000054E4: 0ADEDEFA FF015732
	v_cvt_f32_i32_e32 v112, v112                               // 0000000054EC: 7EE00B70
	v_cvt_f32_i32_e32 v113, v113                               // 0000000054F0: 7EE20B71
	v_cvt_f32_i32_e32 v114, v114                               // 0000000054F4: 7EE40B72
	v_cvt_f32_i32_e32 v115, v115                               // 0000000054F8: 7EE60B73
	v_mul_f32_e32 v112, v14, v112                              // 0000000054FC: 0AE0E10E
	v_mul_f32_e32 v113, v14, v113                              // 000000005500: 0AE2E30E
	v_mul_f32_e32 v114, v14, v114                              // 000000005504: 0AE4E50E
	v_mul_f32_e32 v115, v14, v115                              // 000000005508: 0AE6E70E
	v_mul_f32_dpp v112, v50, v112 row_newbcast:8 row_mask:0xf bank_mask:0xf// 00000000550C: 0AE0E0FA FF015832
	v_mul_f32_dpp v113, v50, v113 row_newbcast:9 row_mask:0xf bank_mask:0xf// 000000005514: 0AE2E2FA FF015932
	v_mul_f32_dpp v114, v50, v114 row_newbcast:10 row_mask:0xf bank_mask:0xf// 00000000551C: 0AE4E4FA FF015A32
	v_mul_f32_dpp v115, v50, v115 row_newbcast:11 row_mask:0xf bank_mask:0xf// 000000005524: 0AE6E6FA FF015B32
	v_cvt_f32_i32_e32 v116, v116                               // 00000000552C: 7EE80B74
	v_cvt_f32_i32_e32 v117, v117                               // 000000005530: 7EEA0B75
	v_cvt_f32_i32_e32 v118, v118                               // 000000005534: 7EEC0B76
	v_cvt_f32_i32_e32 v119, v119                               // 000000005538: 7EEE0B77
	v_mul_f32_e32 v116, v15, v116                              // 00000000553C: 0AE8E90F
	v_mul_f32_e32 v117, v15, v117                              // 000000005540: 0AEAEB0F
	v_mul_f32_e32 v118, v15, v118                              // 000000005544: 0AECED0F
	v_mul_f32_e32 v119, v15, v119                              // 000000005548: 0AEEEF0F
	v_mul_f32_dpp v116, v50, v116 row_newbcast:8 row_mask:0xf bank_mask:0xf// 00000000554C: 0AE8E8FA FF015832
	v_mul_f32_dpp v117, v50, v117 row_newbcast:9 row_mask:0xf bank_mask:0xf// 000000005554: 0AEAEAFA FF015932
	v_mul_f32_dpp v118, v50, v118 row_newbcast:10 row_mask:0xf bank_mask:0xf// 00000000555C: 0AECECFA FF015A32
	v_mul_f32_dpp v119, v50, v119 row_newbcast:11 row_mask:0xf bank_mask:0xf// 000000005564: 0AEEEEFA FF015B32
	s_waitcnt vmcnt(24)                                        // 00000000556C: BF8C4F78
	buffer_load_dwordx4 a[0:3], v41, s[12:15], 0 offen         // 000000005570: E05C1000 80830029
	v_mul_f32_e64 v52, -v128, s6                               // 000000005578: D1050034 20000D80
	v_mul_f32_e64 v53, -v129, s6                               // 000000005580: D1050035 20000D81
	v_mul_f32_e64 v54, -v130, s6                               // 000000005588: D1050036 20000D82
	v_mul_f32_e64 v55, -v131, s6                               // 000000005590: D1050037 20000D83
	v_exp_f32_e32 v52, v52                                     // 000000005598: 7E684134
	v_exp_f32_e32 v53, v53                                     // 00000000559C: 7E6A4135
	v_exp_f32_e32 v54, v54                                     // 0000000055A0: 7E6C4136
	v_exp_f32_e32 v55, v55                                     // 0000000055A4: 7E6E4137
	buffer_load_dwordx4 a[4:7], v42, s[12:15], 0 offen         // 0000000055A8: E05C1000 8083042A
	v_add_f32_e64 v52, v52, 1.0                                // 0000000055B0: D1010034 0001E534
	v_add_f32_e64 v53, v53, 1.0                                // 0000000055B8: D1010035 0001E535
	v_add_f32_e64 v54, v54, 1.0                                // 0000000055C0: D1010036 0001E536
	v_add_f32_e64 v55, v55, 1.0                                // 0000000055C8: D1010037 0001E537
	v_rcp_f32_e32 v52, v52                                     // 0000000055D0: 7E684534
	v_rcp_f32_e32 v53, v53                                     // 0000000055D4: 7E6A4535
	v_rcp_f32_e32 v54, v54                                     // 0000000055D8: 7E6C4536
	v_rcp_f32_e32 v55, v55                                     // 0000000055DC: 7E6E4537
	v_mul_f32_e32 v128, v128, v52                              // 0000000055E0: 0B006980
	v_mul_f32_e32 v129, v129, v53                              // 0000000055E4: 0B026B81
	v_mul_f32_e32 v130, v130, v54                              // 0000000055E8: 0B046D82
	v_mul_f32_e32 v131, v131, v55                              // 0000000055EC: 0B066F83
	v_mul_f32_e32 v128, v128, v64                              // 0000000055F0: 0B008180
	v_mul_f32_e32 v129, v129, v65                              // 0000000055F4: 0B028381
	v_mul_f32_e32 v130, v130, v66                              // 0000000055F8: 0B048582
	v_mul_f32_e32 v131, v131, v67                              // 0000000055FC: 0B068783
	buffer_load_dwordx4 a[8:11], v43, s[12:15], 0 offen        // 000000005600: E05C1000 8083082B
	v_mul_f32_e64 v52, -v132, s6                               // 000000005608: D1050034 20000D84
	v_mul_f32_e64 v53, -v133, s6                               // 000000005610: D1050035 20000D85
	v_mul_f32_e64 v54, -v134, s6                               // 000000005618: D1050036 20000D86
	v_mul_f32_e64 v55, -v135, s6                               // 000000005620: D1050037 20000D87
	v_exp_f32_e32 v52, v52                                     // 000000005628: 7E684134
	v_exp_f32_e32 v53, v53                                     // 00000000562C: 7E6A4135
	v_exp_f32_e32 v54, v54                                     // 000000005630: 7E6C4136
	v_exp_f32_e32 v55, v55                                     // 000000005634: 7E6E4137
	buffer_load_dwordx4 a[12:15], v44, s[12:15], 0 offen       // 000000005638: E05C1000 80830C2C
	s_add_u32 s12, s78, s12                                    // 000000005640: 800C0C4E
	s_addc_u32 s13, 0, s13                                     // 000000005644: 820D0D80
	v_add_f32_e64 v52, v52, 1.0                                // 000000005648: D1010034 0001E534
	v_add_f32_e64 v53, v53, 1.0                                // 000000005650: D1010035 0001E535
	v_add_f32_e64 v54, v54, 1.0                                // 000000005658: D1010036 0001E536
	v_add_f32_e64 v55, v55, 1.0                                // 000000005660: D1010037 0001E537
	v_rcp_f32_e32 v52, v52                                     // 000000005668: 7E684534
	v_rcp_f32_e32 v53, v53                                     // 00000000566C: 7E6A4535
	v_rcp_f32_e32 v54, v54                                     // 000000005670: 7E6C4536
	v_rcp_f32_e32 v55, v55                                     // 000000005674: 7E6E4537
	v_mul_f32_e32 v132, v132, v52                              // 000000005678: 0B086984
	v_mul_f32_e32 v133, v133, v53                              // 00000000567C: 0B0A6B85
	v_mul_f32_e32 v134, v134, v54                              // 000000005680: 0B0C6D86
	v_mul_f32_e32 v135, v135, v55                              // 000000005684: 0B0E6F87
	v_mul_f32_e32 v132, v132, v68                              // 000000005688: 0B088984
	v_mul_f32_e32 v133, v133, v69                              // 00000000568C: 0B0A8B85
	v_mul_f32_e32 v134, v134, v70                              // 000000005690: 0B0C8D86
	v_mul_f32_e32 v135, v135, v71                              // 000000005694: 0B0E8F87
	s_waitcnt vmcnt(24)                                        // 000000005698: BF8C4F78
	buffer_load_dwordx4 a[16:19], v41, s[12:15], 0 offen       // 00000000569C: E05C1000 80831029
	v_mul_f32_e64 v52, -v136, s6                               // 0000000056A4: D1050034 20000D88
	v_mul_f32_e64 v53, -v137, s6                               // 0000000056AC: D1050035 20000D89
	v_mul_f32_e64 v54, -v138, s6                               // 0000000056B4: D1050036 20000D8A
	v_mul_f32_e64 v55, -v139, s6                               // 0000000056BC: D1050037 20000D8B
	v_exp_f32_e32 v52, v52                                     // 0000000056C4: 7E684134
	v_exp_f32_e32 v53, v53                                     // 0000000056C8: 7E6A4135
	v_exp_f32_e32 v54, v54                                     // 0000000056CC: 7E6C4136
	v_exp_f32_e32 v55, v55                                     // 0000000056D0: 7E6E4137
	buffer_load_dwordx4 a[20:23], v42, s[12:15], 0 offen       // 0000000056D4: E05C1000 8083142A
	v_add_f32_e64 v52, v52, 1.0                                // 0000000056DC: D1010034 0001E534
	v_add_f32_e64 v53, v53, 1.0                                // 0000000056E4: D1010035 0001E535
	v_add_f32_e64 v54, v54, 1.0                                // 0000000056EC: D1010036 0001E536
	v_add_f32_e64 v55, v55, 1.0                                // 0000000056F4: D1010037 0001E537
	v_rcp_f32_e32 v52, v52                                     // 0000000056FC: 7E684534
	v_rcp_f32_e32 v53, v53                                     // 000000005700: 7E6A4535
	v_rcp_f32_e32 v54, v54                                     // 000000005704: 7E6C4536
	v_rcp_f32_e32 v55, v55                                     // 000000005708: 7E6E4537
	v_mul_f32_e32 v136, v136, v52                              // 00000000570C: 0B106988
	v_mul_f32_e32 v137, v137, v53                              // 000000005710: 0B126B89
	v_mul_f32_e32 v138, v138, v54                              // 000000005714: 0B146D8A
	v_mul_f32_e32 v139, v139, v55                              // 000000005718: 0B166F8B
	v_mul_f32_e32 v136, v136, v72                              // 00000000571C: 0B109188
	v_mul_f32_e32 v137, v137, v73                              // 000000005720: 0B129389
	v_mul_f32_e32 v138, v138, v74                              // 000000005724: 0B14958A
	v_mul_f32_e32 v139, v139, v75                              // 000000005728: 0B16978B
	buffer_load_dwordx4 a[24:27], v43, s[12:15], 0 offen       // 00000000572C: E05C1000 8083182B
	v_mul_f32_e64 v52, -v140, s6                               // 000000005734: D1050034 20000D8C
	v_mul_f32_e64 v53, -v141, s6                               // 00000000573C: D1050035 20000D8D
	v_mul_f32_e64 v54, -v142, s6                               // 000000005744: D1050036 20000D8E
	v_mul_f32_e64 v55, -v143, s6                               // 00000000574C: D1050037 20000D8F
	v_exp_f32_e32 v52, v52                                     // 000000005754: 7E684134
	v_exp_f32_e32 v53, v53                                     // 000000005758: 7E6A4135
	v_exp_f32_e32 v54, v54                                     // 00000000575C: 7E6C4136
	v_exp_f32_e32 v55, v55                                     // 000000005760: 7E6E4137
	buffer_load_dwordx4 a[28:31], v44, s[12:15], 0 offen       // 000000005764: E05C1000 80831C2C
	s_add_u32 s12, s78, s12                                    // 00000000576C: 800C0C4E
	s_addc_u32 s13, 0, s13                                     // 000000005770: 820D0D80
	v_add_f32_e64 v52, v52, 1.0                                // 000000005774: D1010034 0001E534
	v_add_f32_e64 v53, v53, 1.0                                // 00000000577C: D1010035 0001E535
	v_add_f32_e64 v54, v54, 1.0                                // 000000005784: D1010036 0001E536
	v_add_f32_e64 v55, v55, 1.0                                // 00000000578C: D1010037 0001E537
	v_rcp_f32_e32 v52, v52                                     // 000000005794: 7E684534
	v_rcp_f32_e32 v53, v53                                     // 000000005798: 7E6A4535
	v_rcp_f32_e32 v54, v54                                     // 00000000579C: 7E6C4536
	v_rcp_f32_e32 v55, v55                                     // 0000000057A0: 7E6E4537
	v_mul_f32_e32 v140, v140, v52                              // 0000000057A4: 0B18698C
	v_mul_f32_e32 v141, v141, v53                              // 0000000057A8: 0B1A6B8D
	v_mul_f32_e32 v142, v142, v54                              // 0000000057AC: 0B1C6D8E
	v_mul_f32_e32 v143, v143, v55                              // 0000000057B0: 0B1E6F8F
	v_mul_f32_e32 v140, v140, v76                              // 0000000057B4: 0B18998C
	v_mul_f32_e32 v141, v141, v77                              // 0000000057B8: 0B1A9B8D
	v_mul_f32_e32 v142, v142, v78                              // 0000000057BC: 0B1C9D8E
	v_mul_f32_e32 v143, v143, v79                              // 0000000057C0: 0B1E9F8F
	s_waitcnt vmcnt(24)                                        // 0000000057C4: BF8C4F78
	buffer_load_dwordx4 a[32:35], v41, s[12:15], 0 offen       // 0000000057C8: E05C1000 80832029
	v_mul_f32_e64 v52, -v144, s6                               // 0000000057D0: D1050034 20000D90
	v_mul_f32_e64 v53, -v145, s6                               // 0000000057D8: D1050035 20000D91
	v_mul_f32_e64 v54, -v146, s6                               // 0000000057E0: D1050036 20000D92
	v_mul_f32_e64 v55, -v147, s6                               // 0000000057E8: D1050037 20000D93
	v_exp_f32_e32 v52, v52                                     // 0000000057F0: 7E684134
	v_exp_f32_e32 v53, v53                                     // 0000000057F4: 7E6A4135
	v_exp_f32_e32 v54, v54                                     // 0000000057F8: 7E6C4136
	v_exp_f32_e32 v55, v55                                     // 0000000057FC: 7E6E4137
	buffer_load_dwordx4 a[36:39], v42, s[12:15], 0 offen       // 000000005800: E05C1000 8083242A
	v_add_f32_e64 v52, v52, 1.0                                // 000000005808: D1010034 0001E534
	v_add_f32_e64 v53, v53, 1.0                                // 000000005810: D1010035 0001E535
	v_add_f32_e64 v54, v54, 1.0                                // 000000005818: D1010036 0001E536
	v_add_f32_e64 v55, v55, 1.0                                // 000000005820: D1010037 0001E537
	v_rcp_f32_e32 v52, v52                                     // 000000005828: 7E684534
	v_rcp_f32_e32 v53, v53                                     // 00000000582C: 7E6A4535
	v_rcp_f32_e32 v54, v54                                     // 000000005830: 7E6C4536
	v_rcp_f32_e32 v55, v55                                     // 000000005834: 7E6E4537
	v_mul_f32_e32 v144, v144, v52                              // 000000005838: 0B206990
	v_mul_f32_e32 v145, v145, v53                              // 00000000583C: 0B226B91
	v_mul_f32_e32 v146, v146, v54                              // 000000005840: 0B246D92
	v_mul_f32_e32 v147, v147, v55                              // 000000005844: 0B266F93
	v_mul_f32_e32 v144, v144, v80                              // 000000005848: 0B20A190
	v_mul_f32_e32 v145, v145, v81                              // 00000000584C: 0B22A391
	v_mul_f32_e32 v146, v146, v82                              // 000000005850: 0B24A592
	v_mul_f32_e32 v147, v147, v83                              // 000000005854: 0B26A793
	buffer_load_dwordx4 a[40:43], v43, s[12:15], 0 offen       // 000000005858: E05C1000 8083282B
	v_mul_f32_e64 v52, -v148, s6                               // 000000005860: D1050034 20000D94
	v_mul_f32_e64 v53, -v149, s6                               // 000000005868: D1050035 20000D95
	v_mul_f32_e64 v54, -v150, s6                               // 000000005870: D1050036 20000D96
	v_mul_f32_e64 v55, -v151, s6                               // 000000005878: D1050037 20000D97
	v_exp_f32_e32 v52, v52                                     // 000000005880: 7E684134
	v_exp_f32_e32 v53, v53                                     // 000000005884: 7E6A4135
	v_exp_f32_e32 v54, v54                                     // 000000005888: 7E6C4136
	v_exp_f32_e32 v55, v55                                     // 00000000588C: 7E6E4137
	buffer_load_dwordx4 a[44:47], v44, s[12:15], 0 offen       // 000000005890: E05C1000 80832C2C
	s_add_u32 s12, s78, s12                                    // 000000005898: 800C0C4E
	s_addc_u32 s13, 0, s13                                     // 00000000589C: 820D0D80
	v_add_f32_e64 v52, v52, 1.0                                // 0000000058A0: D1010034 0001E534
	v_add_f32_e64 v53, v53, 1.0                                // 0000000058A8: D1010035 0001E535
	v_add_f32_e64 v54, v54, 1.0                                // 0000000058B0: D1010036 0001E536
	v_add_f32_e64 v55, v55, 1.0                                // 0000000058B8: D1010037 0001E537
	v_rcp_f32_e32 v52, v52                                     // 0000000058C0: 7E684534
	v_rcp_f32_e32 v53, v53                                     // 0000000058C4: 7E6A4535
	v_rcp_f32_e32 v54, v54                                     // 0000000058C8: 7E6C4536
	v_rcp_f32_e32 v55, v55                                     // 0000000058CC: 7E6E4537
	v_mul_f32_e32 v148, v148, v52                              // 0000000058D0: 0B286994
	v_mul_f32_e32 v149, v149, v53                              // 0000000058D4: 0B2A6B95
	v_mul_f32_e32 v150, v150, v54                              // 0000000058D8: 0B2C6D96
	v_mul_f32_e32 v151, v151, v55                              // 0000000058DC: 0B2E6F97
	v_mul_f32_e32 v148, v148, v84                              // 0000000058E0: 0B28A994
	v_mul_f32_e32 v149, v149, v85                              // 0000000058E4: 0B2AAB95
	v_mul_f32_e32 v150, v150, v86                              // 0000000058E8: 0B2CAD96
	v_mul_f32_e32 v151, v151, v87                              // 0000000058EC: 0B2EAF97
	s_waitcnt vmcnt(24)                                        // 0000000058F0: BF8C4F78
	buffer_load_dwordx4 a[48:51], v41, s[12:15], 0 offen       // 0000000058F4: E05C1000 80833029
	v_mul_f32_e64 v52, -v152, s6                               // 0000000058FC: D1050034 20000D98
	v_mul_f32_e64 v53, -v153, s6                               // 000000005904: D1050035 20000D99
	v_mul_f32_e64 v54, -v154, s6                               // 00000000590C: D1050036 20000D9A
	v_mul_f32_e64 v55, -v155, s6                               // 000000005914: D1050037 20000D9B
	v_exp_f32_e32 v52, v52                                     // 00000000591C: 7E684134
	v_exp_f32_e32 v53, v53                                     // 000000005920: 7E6A4135
	v_exp_f32_e32 v54, v54                                     // 000000005924: 7E6C4136
	v_exp_f32_e32 v55, v55                                     // 000000005928: 7E6E4137
	buffer_load_dwordx4 a[52:55], v42, s[12:15], 0 offen       // 00000000592C: E05C1000 8083342A
	v_add_f32_e64 v52, v52, 1.0                                // 000000005934: D1010034 0001E534
	v_add_f32_e64 v53, v53, 1.0                                // 00000000593C: D1010035 0001E535
	v_add_f32_e64 v54, v54, 1.0                                // 000000005944: D1010036 0001E536
	v_add_f32_e64 v55, v55, 1.0                                // 00000000594C: D1010037 0001E537
	v_rcp_f32_e32 v52, v52                                     // 000000005954: 7E684534
	v_rcp_f32_e32 v53, v53                                     // 000000005958: 7E6A4535
	v_rcp_f32_e32 v54, v54                                     // 00000000595C: 7E6C4536
	v_rcp_f32_e32 v55, v55                                     // 000000005960: 7E6E4537
	v_mul_f32_e32 v152, v152, v52                              // 000000005964: 0B306998
	v_mul_f32_e32 v153, v153, v53                              // 000000005968: 0B326B99
	v_mul_f32_e32 v154, v154, v54                              // 00000000596C: 0B346D9A
	v_mul_f32_e32 v155, v155, v55                              // 000000005970: 0B366F9B
	v_mul_f32_e32 v152, v152, v88                              // 000000005974: 0B30B198
	v_mul_f32_e32 v153, v153, v89                              // 000000005978: 0B32B399
	v_mul_f32_e32 v154, v154, v90                              // 00000000597C: 0B34B59A
	v_mul_f32_e32 v155, v155, v91                              // 000000005980: 0B36B79B
	buffer_load_dwordx4 a[56:59], v43, s[12:15], 0 offen       // 000000005984: E05C1000 8083382B
	v_mul_f32_e64 v52, -v156, s6                               // 00000000598C: D1050034 20000D9C
	v_mul_f32_e64 v53, -v157, s6                               // 000000005994: D1050035 20000D9D
	v_mul_f32_e64 v54, -v158, s6                               // 00000000599C: D1050036 20000D9E
	v_mul_f32_e64 v55, -v159, s6                               // 0000000059A4: D1050037 20000D9F
	v_exp_f32_e32 v52, v52                                     // 0000000059AC: 7E684134
	v_exp_f32_e32 v53, v53                                     // 0000000059B0: 7E6A4135
	v_exp_f32_e32 v54, v54                                     // 0000000059B4: 7E6C4136
	v_exp_f32_e32 v55, v55                                     // 0000000059B8: 7E6E4137
	buffer_load_dwordx4 a[60:63], v44, s[12:15], 0 offen       // 0000000059BC: E05C1000 80833C2C
	s_add_u32 s12, s78, s12                                    // 0000000059C4: 800C0C4E
	s_addc_u32 s13, 0, s13                                     // 0000000059C8: 820D0D80
	v_add_f32_e64 v52, v52, 1.0                                // 0000000059CC: D1010034 0001E534
	v_add_f32_e64 v53, v53, 1.0                                // 0000000059D4: D1010035 0001E535
	v_add_f32_e64 v54, v54, 1.0                                // 0000000059DC: D1010036 0001E536
	v_add_f32_e64 v55, v55, 1.0                                // 0000000059E4: D1010037 0001E537
	v_rcp_f32_e32 v52, v52                                     // 0000000059EC: 7E684534
	v_rcp_f32_e32 v53, v53                                     // 0000000059F0: 7E6A4535
	v_rcp_f32_e32 v54, v54                                     // 0000000059F4: 7E6C4536
	v_rcp_f32_e32 v55, v55                                     // 0000000059F8: 7E6E4537
	v_mul_f32_e32 v156, v156, v52                              // 0000000059FC: 0B38699C
	v_mul_f32_e32 v157, v157, v53                              // 000000005A00: 0B3A6B9D
	v_mul_f32_e32 v158, v158, v54                              // 000000005A04: 0B3C6D9E
	v_mul_f32_e32 v159, v159, v55                              // 000000005A08: 0B3E6F9F
	v_mul_f32_e32 v156, v156, v92                              // 000000005A0C: 0B38B99C
	v_mul_f32_e32 v157, v157, v93                              // 000000005A10: 0B3ABB9D
	v_mul_f32_e32 v158, v158, v94                              // 000000005A14: 0B3CBD9E
	v_mul_f32_e32 v159, v159, v95                              // 000000005A18: 0B3EBF9F
	s_waitcnt vmcnt(24)                                        // 000000005A1C: BF8C4F78
	buffer_load_dwordx4 a[64:67], v41, s[12:15], 0 offen       // 000000005A20: E05C1000 80834029
	v_mul_f32_e64 v52, -v160, s6                               // 000000005A28: D1050034 20000DA0
	v_mul_f32_e64 v53, -v161, s6                               // 000000005A30: D1050035 20000DA1
	v_mul_f32_e64 v54, -v162, s6                               // 000000005A38: D1050036 20000DA2
	v_mul_f32_e64 v55, -v163, s6                               // 000000005A40: D1050037 20000DA3
	v_exp_f32_e32 v52, v52                                     // 000000005A48: 7E684134
	v_exp_f32_e32 v53, v53                                     // 000000005A4C: 7E6A4135
	v_exp_f32_e32 v54, v54                                     // 000000005A50: 7E6C4136
	v_exp_f32_e32 v55, v55                                     // 000000005A54: 7E6E4137
	buffer_load_dwordx4 a[68:71], v42, s[12:15], 0 offen       // 000000005A58: E05C1000 8083442A
	v_add_f32_e64 v52, v52, 1.0                                // 000000005A60: D1010034 0001E534
	v_add_f32_e64 v53, v53, 1.0                                // 000000005A68: D1010035 0001E535
	v_add_f32_e64 v54, v54, 1.0                                // 000000005A70: D1010036 0001E536
	v_add_f32_e64 v55, v55, 1.0                                // 000000005A78: D1010037 0001E537
	v_rcp_f32_e32 v52, v52                                     // 000000005A80: 7E684534
	v_rcp_f32_e32 v53, v53                                     // 000000005A84: 7E6A4535
	v_rcp_f32_e32 v54, v54                                     // 000000005A88: 7E6C4536
	v_rcp_f32_e32 v55, v55                                     // 000000005A8C: 7E6E4537
	v_mul_f32_e32 v160, v160, v52                              // 000000005A90: 0B4069A0
	v_mul_f32_e32 v161, v161, v53                              // 000000005A94: 0B426BA1
	v_mul_f32_e32 v162, v162, v54                              // 000000005A98: 0B446DA2
	v_mul_f32_e32 v163, v163, v55                              // 000000005A9C: 0B466FA3
	v_mul_f32_e32 v160, v160, v96                              // 000000005AA0: 0B40C1A0
	v_mul_f32_e32 v161, v161, v97                              // 000000005AA4: 0B42C3A1
	v_mul_f32_e32 v162, v162, v98                              // 000000005AA8: 0B44C5A2
	v_mul_f32_e32 v163, v163, v99                              // 000000005AAC: 0B46C7A3
	buffer_load_dwordx4 a[72:75], v43, s[12:15], 0 offen       // 000000005AB0: E05C1000 8083482B
	v_mul_f32_e64 v52, -v164, s6                               // 000000005AB8: D1050034 20000DA4
	v_mul_f32_e64 v53, -v165, s6                               // 000000005AC0: D1050035 20000DA5
	v_mul_f32_e64 v54, -v166, s6                               // 000000005AC8: D1050036 20000DA6
	v_mul_f32_e64 v55, -v167, s6                               // 000000005AD0: D1050037 20000DA7
	v_exp_f32_e32 v52, v52                                     // 000000005AD8: 7E684134
	v_exp_f32_e32 v53, v53                                     // 000000005ADC: 7E6A4135
	v_exp_f32_e32 v54, v54                                     // 000000005AE0: 7E6C4136
	v_exp_f32_e32 v55, v55                                     // 000000005AE4: 7E6E4137
	buffer_load_dwordx4 a[76:79], v44, s[12:15], 0 offen       // 000000005AE8: E05C1000 80834C2C
	s_add_u32 s12, s78, s12                                    // 000000005AF0: 800C0C4E
	s_addc_u32 s13, 0, s13                                     // 000000005AF4: 820D0D80
	v_add_f32_e64 v52, v52, 1.0                                // 000000005AF8: D1010034 0001E534
	v_add_f32_e64 v53, v53, 1.0                                // 000000005B00: D1010035 0001E535
	v_add_f32_e64 v54, v54, 1.0                                // 000000005B08: D1010036 0001E536
	v_add_f32_e64 v55, v55, 1.0                                // 000000005B10: D1010037 0001E537
	v_rcp_f32_e32 v52, v52                                     // 000000005B18: 7E684534
	v_rcp_f32_e32 v53, v53                                     // 000000005B1C: 7E6A4535
	v_rcp_f32_e32 v54, v54                                     // 000000005B20: 7E6C4536
	v_rcp_f32_e32 v55, v55                                     // 000000005B24: 7E6E4537
	v_mul_f32_e32 v164, v164, v52                              // 000000005B28: 0B4869A4
	v_mul_f32_e32 v165, v165, v53                              // 000000005B2C: 0B4A6BA5
	v_mul_f32_e32 v166, v166, v54                              // 000000005B30: 0B4C6DA6
	v_mul_f32_e32 v167, v167, v55                              // 000000005B34: 0B4E6FA7
	v_mul_f32_e32 v164, v164, v100                             // 000000005B38: 0B48C9A4
	v_mul_f32_e32 v165, v165, v101                             // 000000005B3C: 0B4ACBA5
	v_mul_f32_e32 v166, v166, v102                             // 000000005B40: 0B4CCDA6
	v_mul_f32_e32 v167, v167, v103                             // 000000005B44: 0B4ECFA7
	s_waitcnt vmcnt(24)                                        // 000000005B48: BF8C4F78
	buffer_load_dwordx4 a[80:83], v41, s[12:15], 0 offen       // 000000005B4C: E05C1000 80835029
	v_mul_f32_e64 v52, -v168, s6                               // 000000005B54: D1050034 20000DA8
	v_mul_f32_e64 v53, -v169, s6                               // 000000005B5C: D1050035 20000DA9
	v_mul_f32_e64 v54, -v170, s6                               // 000000005B64: D1050036 20000DAA
	v_mul_f32_e64 v55, -v171, s6                               // 000000005B6C: D1050037 20000DAB
	v_exp_f32_e32 v52, v52                                     // 000000005B74: 7E684134
	v_exp_f32_e32 v53, v53                                     // 000000005B78: 7E6A4135
	v_exp_f32_e32 v54, v54                                     // 000000005B7C: 7E6C4136
	v_exp_f32_e32 v55, v55                                     // 000000005B80: 7E6E4137
	buffer_load_dwordx4 a[84:87], v42, s[12:15], 0 offen       // 000000005B84: E05C1000 8083542A
	v_add_f32_e64 v52, v52, 1.0                                // 000000005B8C: D1010034 0001E534
	v_add_f32_e64 v53, v53, 1.0                                // 000000005B94: D1010035 0001E535
	v_add_f32_e64 v54, v54, 1.0                                // 000000005B9C: D1010036 0001E536
	v_add_f32_e64 v55, v55, 1.0                                // 000000005BA4: D1010037 0001E537
	v_rcp_f32_e32 v52, v52                                     // 000000005BAC: 7E684534
	v_rcp_f32_e32 v53, v53                                     // 000000005BB0: 7E6A4535
	v_rcp_f32_e32 v54, v54                                     // 000000005BB4: 7E6C4536
	v_rcp_f32_e32 v55, v55                                     // 000000005BB8: 7E6E4537
	v_mul_f32_e32 v168, v168, v52                              // 000000005BBC: 0B5069A8
	v_mul_f32_e32 v169, v169, v53                              // 000000005BC0: 0B526BA9
	v_mul_f32_e32 v170, v170, v54                              // 000000005BC4: 0B546DAA
	v_mul_f32_e32 v171, v171, v55                              // 000000005BC8: 0B566FAB
	v_mul_f32_e32 v168, v168, v104                             // 000000005BCC: 0B50D1A8
	v_mul_f32_e32 v169, v169, v105                             // 000000005BD0: 0B52D3A9
	v_mul_f32_e32 v170, v170, v106                             // 000000005BD4: 0B54D5AA
	v_mul_f32_e32 v171, v171, v107                             // 000000005BD8: 0B56D7AB
	buffer_load_dwordx4 a[88:91], v43, s[12:15], 0 offen       // 000000005BDC: E05C1000 8083582B
	v_mul_f32_e64 v52, -v172, s6                               // 000000005BE4: D1050034 20000DAC
	v_mul_f32_e64 v53, -v173, s6                               // 000000005BEC: D1050035 20000DAD
	v_mul_f32_e64 v54, -v174, s6                               // 000000005BF4: D1050036 20000DAE
	v_mul_f32_e64 v55, -v175, s6                               // 000000005BFC: D1050037 20000DAF
	v_exp_f32_e32 v52, v52                                     // 000000005C04: 7E684134
	v_exp_f32_e32 v53, v53                                     // 000000005C08: 7E6A4135
	v_exp_f32_e32 v54, v54                                     // 000000005C0C: 7E6C4136
	v_exp_f32_e32 v55, v55                                     // 000000005C10: 7E6E4137
	buffer_load_dwordx4 a[92:95], v44, s[12:15], 0 offen       // 000000005C14: E05C1000 80835C2C
	s_add_u32 s12, s78, s12                                    // 000000005C1C: 800C0C4E
	s_addc_u32 s13, 0, s13                                     // 000000005C20: 820D0D80
	v_add_f32_e64 v52, v52, 1.0                                // 000000005C24: D1010034 0001E534
	v_add_f32_e64 v53, v53, 1.0                                // 000000005C2C: D1010035 0001E535
	v_add_f32_e64 v54, v54, 1.0                                // 000000005C34: D1010036 0001E536
	v_add_f32_e64 v55, v55, 1.0                                // 000000005C3C: D1010037 0001E537
	v_rcp_f32_e32 v52, v52                                     // 000000005C44: 7E684534
	v_rcp_f32_e32 v53, v53                                     // 000000005C48: 7E6A4535
	v_rcp_f32_e32 v54, v54                                     // 000000005C4C: 7E6C4536
	v_rcp_f32_e32 v55, v55                                     // 000000005C50: 7E6E4537
	v_mul_f32_e32 v172, v172, v52                              // 000000005C54: 0B5869AC
	v_mul_f32_e32 v173, v173, v53                              // 000000005C58: 0B5A6BAD
	v_mul_f32_e32 v174, v174, v54                              // 000000005C5C: 0B5C6DAE
	v_mul_f32_e32 v175, v175, v55                              // 000000005C60: 0B5E6FAF
	v_mul_f32_e32 v172, v172, v108                             // 000000005C64: 0B58D9AC
	v_mul_f32_e32 v173, v173, v109                             // 000000005C68: 0B5ADBAD
	v_mul_f32_e32 v174, v174, v110                             // 000000005C6C: 0B5CDDAE
	v_mul_f32_e32 v175, v175, v111                             // 000000005C70: 0B5EDFAF
	s_waitcnt vmcnt(24)                                        // 000000005C74: BF8C4F78
	buffer_load_dwordx4 a[96:99], v41, s[12:15], 0 offen       // 000000005C78: E05C1000 80836029
	v_mul_f32_e64 v52, -v176, s6                               // 000000005C80: D1050034 20000DB0
	v_mul_f32_e64 v53, -v177, s6                               // 000000005C88: D1050035 20000DB1
	v_mul_f32_e64 v54, -v178, s6                               // 000000005C90: D1050036 20000DB2
	v_mul_f32_e64 v55, -v179, s6                               // 000000005C98: D1050037 20000DB3
	v_exp_f32_e32 v52, v52                                     // 000000005CA0: 7E684134
	v_exp_f32_e32 v53, v53                                     // 000000005CA4: 7E6A4135
	v_exp_f32_e32 v54, v54                                     // 000000005CA8: 7E6C4136
	v_exp_f32_e32 v55, v55                                     // 000000005CAC: 7E6E4137
	buffer_load_dwordx4 a[100:103], v42, s[12:15], 0 offen     // 000000005CB0: E05C1000 8083642A
	v_add_f32_e64 v52, v52, 1.0                                // 000000005CB8: D1010034 0001E534
	v_add_f32_e64 v53, v53, 1.0                                // 000000005CC0: D1010035 0001E535
	v_add_f32_e64 v54, v54, 1.0                                // 000000005CC8: D1010036 0001E536
	v_add_f32_e64 v55, v55, 1.0                                // 000000005CD0: D1010037 0001E537
	v_rcp_f32_e32 v52, v52                                     // 000000005CD8: 7E684534
	v_rcp_f32_e32 v53, v53                                     // 000000005CDC: 7E6A4535
	v_rcp_f32_e32 v54, v54                                     // 000000005CE0: 7E6C4536
	v_rcp_f32_e32 v55, v55                                     // 000000005CE4: 7E6E4537
	v_mul_f32_e32 v176, v176, v52                              // 000000005CE8: 0B6069B0
	v_mul_f32_e32 v177, v177, v53                              // 000000005CEC: 0B626BB1
	v_mul_f32_e32 v178, v178, v54                              // 000000005CF0: 0B646DB2
	v_mul_f32_e32 v179, v179, v55                              // 000000005CF4: 0B666FB3
	v_mul_f32_e32 v176, v176, v112                             // 000000005CF8: 0B60E1B0
	v_mul_f32_e32 v177, v177, v113                             // 000000005CFC: 0B62E3B1
	v_mul_f32_e32 v178, v178, v114                             // 000000005D00: 0B64E5B2
	v_mul_f32_e32 v179, v179, v115                             // 000000005D04: 0B66E7B3
	buffer_load_dwordx4 a[104:107], v43, s[12:15], 0 offen     // 000000005D08: E05C1000 8083682B
	v_mul_f32_e64 v52, -v180, s6                               // 000000005D10: D1050034 20000DB4
	v_mul_f32_e64 v53, -v181, s6                               // 000000005D18: D1050035 20000DB5
	v_mul_f32_e64 v54, -v182, s6                               // 000000005D20: D1050036 20000DB6
	v_mul_f32_e64 v55, -v183, s6                               // 000000005D28: D1050037 20000DB7
	v_exp_f32_e32 v52, v52                                     // 000000005D30: 7E684134
	v_exp_f32_e32 v53, v53                                     // 000000005D34: 7E6A4135
	v_exp_f32_e32 v54, v54                                     // 000000005D38: 7E6C4136
	v_exp_f32_e32 v55, v55                                     // 000000005D3C: 7E6E4137
	buffer_load_dwordx4 a[108:111], v44, s[12:15], 0 offen     // 000000005D40: E05C1000 80836C2C
	v_add_f32_e64 v52, v52, 1.0                                // 000000005D48: D1010034 0001E534
	v_add_f32_e64 v53, v53, 1.0                                // 000000005D50: D1010035 0001E535
	v_add_f32_e64 v54, v54, 1.0                                // 000000005D58: D1010036 0001E536
	v_add_f32_e64 v55, v55, 1.0                                // 000000005D60: D1010037 0001E537
	v_rcp_f32_e32 v52, v52                                     // 000000005D68: 7E684534
	v_rcp_f32_e32 v53, v53                                     // 000000005D6C: 7E6A4535
	v_rcp_f32_e32 v54, v54                                     // 000000005D70: 7E6C4536
	v_rcp_f32_e32 v55, v55                                     // 000000005D74: 7E6E4537
	v_mul_f32_e32 v180, v180, v52                              // 000000005D78: 0B6869B4
	v_mul_f32_e32 v181, v181, v53                              // 000000005D7C: 0B6A6BB5
	v_mul_f32_e32 v182, v182, v54                              // 000000005D80: 0B6C6DB6
	v_mul_f32_e32 v183, v183, v55                              // 000000005D84: 0B6E6FB7
	v_mul_f32_e32 v180, v180, v116                             // 000000005D88: 0B68E9B4
	v_mul_f32_e32 v181, v181, v117                             // 000000005D8C: 0B6AEBB5
	v_mul_f32_e32 v182, v182, v118                             // 000000005D90: 0B6CEDB6
	v_mul_f32_e32 v183, v183, v119                             // 000000005D94: 0B6EEFB7
	v_mul_f32_dpp v128, v18, v128 row_newbcast:0 row_mask:0xf bank_mask:0xf// 000000005D98: 0B0100FA FF015012
	v_mul_f32_dpp v129, v18, v129 row_newbcast:1 row_mask:0xf bank_mask:0xf// 000000005DA0: 0B0302FA FF015112
	v_mul_f32_dpp v130, v18, v130 row_newbcast:2 row_mask:0xf bank_mask:0xf// 000000005DA8: 0B0504FA FF015212
	v_mul_f32_dpp v131, v18, v131 row_newbcast:3 row_mask:0xf bank_mask:0xf// 000000005DB0: 0B0706FA FF015312
	v_mul_f32_dpp v132, v18, v132 row_newbcast:0 row_mask:0xf bank_mask:0xf// 000000005DB8: 0B0908FA FF015012
	v_mul_f32_dpp v133, v18, v133 row_newbcast:1 row_mask:0xf bank_mask:0xf// 000000005DC0: 0B0B0AFA FF015112
	v_mul_f32_dpp v134, v18, v134 row_newbcast:2 row_mask:0xf bank_mask:0xf// 000000005DC8: 0B0D0CFA FF015212
	v_mul_f32_dpp v135, v18, v135 row_newbcast:3 row_mask:0xf bank_mask:0xf// 000000005DD0: 0B0F0EFA FF015312
	v_mul_f32_dpp v136, v18, v136 row_newbcast:4 row_mask:0xf bank_mask:0xf// 000000005DD8: 0B1110FA FF015412
	v_mul_f32_dpp v137, v18, v137 row_newbcast:5 row_mask:0xf bank_mask:0xf// 000000005DE0: 0B1312FA FF015512
	v_mul_f32_dpp v138, v18, v138 row_newbcast:6 row_mask:0xf bank_mask:0xf// 000000005DE8: 0B1514FA FF015612
	v_mul_f32_dpp v139, v18, v139 row_newbcast:7 row_mask:0xf bank_mask:0xf// 000000005DF0: 0B1716FA FF015712
	v_mul_f32_dpp v140, v18, v140 row_newbcast:4 row_mask:0xf bank_mask:0xf// 000000005DF8: 0B1918FA FF015412
	v_mul_f32_dpp v141, v18, v141 row_newbcast:5 row_mask:0xf bank_mask:0xf// 000000005E00: 0B1B1AFA FF015512
	v_mul_f32_dpp v142, v18, v142 row_newbcast:6 row_mask:0xf bank_mask:0xf// 000000005E08: 0B1D1CFA FF015612
	v_mul_f32_dpp v143, v18, v143 row_newbcast:7 row_mask:0xf bank_mask:0xf// 000000005E10: 0B1F1EFA FF015712
	v_mul_f32_dpp v144, v18, v144 row_newbcast:8 row_mask:0xf bank_mask:0xf// 000000005E18: 0B2120FA FF015812
	v_mul_f32_dpp v145, v18, v145 row_newbcast:9 row_mask:0xf bank_mask:0xf// 000000005E20: 0B2322FA FF015912
	v_mul_f32_dpp v146, v18, v146 row_newbcast:10 row_mask:0xf bank_mask:0xf// 000000005E28: 0B2524FA FF015A12
	v_mul_f32_dpp v147, v18, v147 row_newbcast:11 row_mask:0xf bank_mask:0xf// 000000005E30: 0B2726FA FF015B12
	v_mul_f32_dpp v148, v18, v148 row_newbcast:8 row_mask:0xf bank_mask:0xf// 000000005E38: 0B2928FA FF015812
	v_mul_f32_dpp v149, v18, v149 row_newbcast:9 row_mask:0xf bank_mask:0xf// 000000005E40: 0B2B2AFA FF015912
	v_mul_f32_dpp v150, v18, v150 row_newbcast:10 row_mask:0xf bank_mask:0xf// 000000005E48: 0B2D2CFA FF015A12
	v_mul_f32_dpp v151, v18, v151 row_newbcast:11 row_mask:0xf bank_mask:0xf// 000000005E50: 0B2F2EFA FF015B12
	v_mul_f32_dpp v152, v18, v152 row_newbcast:12 row_mask:0xf bank_mask:0xf// 000000005E58: 0B3130FA FF015C12
	v_mul_f32_dpp v153, v18, v153 row_newbcast:13 row_mask:0xf bank_mask:0xf// 000000005E60: 0B3332FA FF015D12
	v_mul_f32_dpp v154, v18, v154 row_newbcast:14 row_mask:0xf bank_mask:0xf// 000000005E68: 0B3534FA FF015E12
	v_mul_f32_dpp v155, v18, v155 row_newbcast:15 row_mask:0xf bank_mask:0xf// 000000005E70: 0B3736FA FF015F12
	v_mul_f32_dpp v156, v18, v156 row_newbcast:12 row_mask:0xf bank_mask:0xf// 000000005E78: 0B3938FA FF015C12
	v_mul_f32_dpp v157, v18, v157 row_newbcast:13 row_mask:0xf bank_mask:0xf// 000000005E80: 0B3B3AFA FF015D12
	v_mul_f32_dpp v158, v18, v158 row_newbcast:14 row_mask:0xf bank_mask:0xf// 000000005E88: 0B3D3CFA FF015E12
	v_mul_f32_dpp v159, v18, v159 row_newbcast:15 row_mask:0xf bank_mask:0xf// 000000005E90: 0B3F3EFA FF015F12
	v_mul_f32_dpp v160, v19, v160 row_newbcast:0 row_mask:0xf bank_mask:0xf// 000000005E98: 0B4140FA FF015013
	v_mul_f32_dpp v161, v19, v161 row_newbcast:1 row_mask:0xf bank_mask:0xf// 000000005EA0: 0B4342FA FF015113
	v_mul_f32_dpp v162, v19, v162 row_newbcast:2 row_mask:0xf bank_mask:0xf// 000000005EA8: 0B4544FA FF015213
	v_mul_f32_dpp v163, v19, v163 row_newbcast:3 row_mask:0xf bank_mask:0xf// 000000005EB0: 0B4746FA FF015313
	v_mul_f32_dpp v164, v19, v164 row_newbcast:0 row_mask:0xf bank_mask:0xf// 000000005EB8: 0B4948FA FF015013
	v_mul_f32_dpp v165, v19, v165 row_newbcast:1 row_mask:0xf bank_mask:0xf// 000000005EC0: 0B4B4AFA FF015113
	v_mul_f32_dpp v166, v19, v166 row_newbcast:2 row_mask:0xf bank_mask:0xf// 000000005EC8: 0B4D4CFA FF015213
	v_mul_f32_dpp v167, v19, v167 row_newbcast:3 row_mask:0xf bank_mask:0xf// 000000005ED0: 0B4F4EFA FF015313
	v_mul_f32_dpp v168, v19, v168 row_newbcast:4 row_mask:0xf bank_mask:0xf// 000000005ED8: 0B5150FA FF015413
	v_mul_f32_dpp v169, v19, v169 row_newbcast:5 row_mask:0xf bank_mask:0xf// 000000005EE0: 0B5352FA FF015513
	v_mul_f32_dpp v170, v19, v170 row_newbcast:6 row_mask:0xf bank_mask:0xf// 000000005EE8: 0B5554FA FF015613
	v_mul_f32_dpp v171, v19, v171 row_newbcast:7 row_mask:0xf bank_mask:0xf// 000000005EF0: 0B5756FA FF015713
	v_mul_f32_dpp v172, v19, v172 row_newbcast:4 row_mask:0xf bank_mask:0xf// 000000005EF8: 0B5958FA FF015413
	v_mul_f32_dpp v173, v19, v173 row_newbcast:5 row_mask:0xf bank_mask:0xf// 000000005F00: 0B5B5AFA FF015513
	v_mul_f32_dpp v174, v19, v174 row_newbcast:6 row_mask:0xf bank_mask:0xf// 000000005F08: 0B5D5CFA FF015613
	v_mul_f32_dpp v175, v19, v175 row_newbcast:7 row_mask:0xf bank_mask:0xf// 000000005F10: 0B5F5EFA FF015713
	v_mul_f32_dpp v176, v19, v176 row_newbcast:8 row_mask:0xf bank_mask:0xf// 000000005F18: 0B6160FA FF015813
	v_mul_f32_dpp v177, v19, v177 row_newbcast:9 row_mask:0xf bank_mask:0xf// 000000005F20: 0B6362FA FF015913
	v_mul_f32_dpp v178, v19, v178 row_newbcast:10 row_mask:0xf bank_mask:0xf// 000000005F28: 0B6564FA FF015A13
	v_mul_f32_dpp v179, v19, v179 row_newbcast:11 row_mask:0xf bank_mask:0xf// 000000005F30: 0B6766FA FF015B13
	v_mul_f32_dpp v180, v19, v180 row_newbcast:8 row_mask:0xf bank_mask:0xf// 000000005F38: 0B6968FA FF015813
	v_mul_f32_dpp v181, v19, v181 row_newbcast:9 row_mask:0xf bank_mask:0xf// 000000005F40: 0B6B6AFA FF015913
	v_mul_f32_dpp v182, v19, v182 row_newbcast:10 row_mask:0xf bank_mask:0xf// 000000005F48: 0B6D6CFA FF015A13
	v_mul_f32_dpp v183, v19, v183 row_newbcast:11 row_mask:0xf bank_mask:0xf// 000000005F50: 0B6F6EFA FF015B13
	v_lshlrev_b32_e32 v52, 2, v0                               // 000000005F58: 24680082
	s_mul_i32 s60, s82, s71                                    // 000000005F5C: 923C4752
	v_add_u32_e64 v80, v52, s60                                // 000000005F60: D1340050 00007934
	v_mov_b32_e32 v81, 0                                       // 000000005F68: 7EA20280
	s_mul_i32 s60, s83, s71                                    // 000000005F6C: 923C4753
	v_add_u32_e64 v82, v52, s60                                // 000000005F70: D1340052 00007934
	v_mov_b32_e32 v83, 0                                       // 000000005F78: 7EA60280
	s_mul_i32 s60, s84, s71                                    // 000000005F7C: 923C4754
	v_add_u32_e64 v84, v52, s60                                // 000000005F80: D1340054 00007934
	v_mov_b32_e32 v85, 0                                       // 000000005F88: 7EAA0280
	s_mul_i32 s60, s85, s71                                    // 000000005F8C: 923C4755
	v_add_u32_e64 v86, v52, s60                                // 000000005F90: D1340056 00007934
	v_mov_b32_e32 v87, 0                                       // 000000005F98: 7EAE0280
	s_mul_i32 s60, s86, s71                                    // 000000005F9C: 923C4756
	v_add_u32_e64 v88, v52, s60                                // 000000005FA0: D1340058 00007934
	v_mov_b32_e32 v89, 0                                       // 000000005FA8: 7EB20280
	s_mul_i32 s60, s87, s71                                    // 000000005FAC: 923C4757
	v_add_u32_e64 v90, v52, s60                                // 000000005FB0: D134005A 00007934
	v_mov_b32_e32 v91, 0                                       // 000000005FB8: 7EB60280
	s_mul_i32 s60, s88, s71                                    // 000000005FBC: 923C4758
	v_add_u32_e64 v92, v52, s60                                // 000000005FC0: D134005C 00007934
	v_mov_b32_e32 v93, 0                                       // 000000005FC8: 7EBA0280
	s_mul_i32 s60, s89, s71                                    // 000000005FCC: 923C4759
	v_add_u32_e64 v94, v52, s60                                // 000000005FD0: D134005E 00007934
	v_mov_b32_e32 v95, 0                                       // 000000005FD8: 7EBE0280
	buffer_load_dword v12, v5, s[16:19], 0 offen               // 000000005FDC: E0501000 80040C05
	v_mov_b32_e32 v22, 0x358637bd                              // 000000005FE4: 7E2C02FF 358637BD
	v_mov_b32_e32 v23, 0x358637bd                              // 000000005FEC: 7E2E02FF 358637BD
	v_max3_f32 v22, |v128|, |v129|, v22                        // 000000005FF4: D1D30316 045B0380
	v_max3_f32 v22, |v130|, |v131|, v22                        // 000000005FFC: D1D30316 045B0782
	v_max3_f32 v23, |v132|, |v133|, v23                        // 000000006004: D1D30317 045F0B84
	v_max3_f32 v23, |v134|, |v135|, v23                        // 00000000600C: D1D30317 045F0F86
	v_max3_f32 v22, |v136|, |v137|, v22                        // 000000006014: D1D30316 045B1388
	v_max3_f32 v22, |v138|, |v139|, v22                        // 00000000601C: D1D30316 045B178A
	v_max3_f32 v23, |v140|, |v141|, v23                        // 000000006024: D1D30317 045F1B8C
	v_max3_f32 v23, |v142|, |v143|, v23                        // 00000000602C: D1D30317 045F1F8E
	v_max3_f32 v22, |v144|, |v145|, v22                        // 000000006034: D1D30316 045B2390
	v_max3_f32 v22, |v146|, |v147|, v22                        // 00000000603C: D1D30316 045B2792
	v_max3_f32 v23, |v148|, |v149|, v23                        // 000000006044: D1D30317 045F2B94
	v_max3_f32 v23, |v150|, |v151|, v23                        // 00000000604C: D1D30317 045F2F96
	v_max3_f32 v22, |v152|, |v153|, v22                        // 000000006054: D1D30316 045B3398
	v_max3_f32 v22, |v154|, |v155|, v22                        // 00000000605C: D1D30316 045B379A
	v_max3_f32 v23, |v156|, |v157|, v23                        // 000000006064: D1D30317 045F3B9C
	v_max3_f32 v23, |v158|, |v159|, v23                        // 00000000606C: D1D30317 045F3F9E
	v_max3_f32 v22, |v160|, |v161|, v22                        // 000000006074: D1D30316 045B43A0
	v_max3_f32 v22, |v162|, |v163|, v22                        // 00000000607C: D1D30316 045B47A2
	v_max3_f32 v23, |v164|, |v165|, v23                        // 000000006084: D1D30317 045F4BA4
	v_max3_f32 v23, |v166|, |v167|, v23                        // 00000000608C: D1D30317 045F4FA6
	v_max3_f32 v22, |v168|, |v169|, v22                        // 000000006094: D1D30316 045B53A8
	v_max3_f32 v22, |v170|, |v171|, v22                        // 00000000609C: D1D30316 045B57AA
	v_max3_f32 v23, |v172|, |v173|, v23                        // 0000000060A4: D1D30317 045F5BAC
	v_max3_f32 v23, |v174|, |v175|, v23                        // 0000000060AC: D1D30317 045F5FAE
	v_max3_f32 v22, |v176|, |v177|, v22                        // 0000000060B4: D1D30316 045B63B0
	v_max3_f32 v22, |v178|, |v179|, v22                        // 0000000060BC: D1D30316 045B67B2
	v_max3_f32 v23, |v180|, |v181|, v23                        // 0000000060C4: D1D30317 045F6BB4
	v_max3_f32 v23, |v182|, |v183|, v23                        // 0000000060CC: D1D30317 045F6FB6
	v_lshlrev_b32_e32 v52, 3, v0                               // 0000000060D4: 24680083
	s_mul_i32 s60, 0x200, s7                                   // 0000000060D8: 923C07FF 00000200
	v_add_u32_e32 v52, s60, v52                                // 0000000060E0: 6868683C
	ds_write_b64 v52, v[22:23] offset:16640                    // 0000000060E4: D89A4100 00001634
	s_waitcnt lgkmcnt(0)                                       // 0000000060EC: BF8CC07F
	s_barrier                                                  // 0000000060F0: BF8A0000
	v_and_b32_e32 v52, 15, v0                                  // 0000000060F4: 2668008F
	v_lshlrev_b32_e32 v52, 3, v52                              // 0000000060F8: 24686883
	ds_read_b64 v[96:97], v52 offset:16640                     // 0000000060FC: D8EC4100 60000034
	ds_read_b64 v[98:99], v52 offset:16768                     // 000000006104: D8EC4180 62000034
	ds_read_b64 v[100:101], v52 offset:16896                   // 00000000610C: D8EC4200 64000034
	ds_read_b64 v[102:103], v52 offset:17024                   // 000000006114: D8EC4280 66000034
	ds_read_b64 v[104:105], v52 offset:17152                   // 00000000611C: D8EC4300 68000034
	ds_read_b64 v[106:107], v52 offset:17280                   // 000000006124: D8EC4380 6A000034
	ds_read_b64 v[108:109], v52 offset:17408                   // 00000000612C: D8EC4400 6C000034
	ds_read_b64 v[110:111], v52 offset:17536                   // 000000006134: D8EC4480 6E000034
	ds_read_b64 v[112:113], v52 offset:17664                   // 00000000613C: D8EC4500 70000034
	ds_read_b64 v[114:115], v52 offset:17792                   // 000000006144: D8EC4580 72000034
	ds_read_b64 v[116:117], v52 offset:17920                   // 00000000614C: D8EC4600 74000034
	ds_read_b64 v[118:119], v52 offset:18048                   // 000000006154: D8EC4680 76000034
	ds_read_b64 v[120:121], v52 offset:18176                   // 00000000615C: D8EC4700 78000034
	ds_read_b64 v[122:123], v52 offset:18304                   // 000000006164: D8EC4780 7A000034
	ds_read_b64 v[124:125], v52 offset:18432                   // 00000000616C: D8EC4800 7C000034
	ds_read_b64 v[126:127], v52 offset:18560                   // 000000006174: D8EC4880 7E000034
	s_waitcnt lgkmcnt(0)                                       // 00000000617C: BF8CC07F
	v_max3_f32 v22, |v96|, |v98|, v22                          // 000000006180: D1D30316 045AC560
	v_max3_f32 v23, |v97|, |v99|, v23                          // 000000006188: D1D30317 045EC761
	v_max3_f32 v22, |v100|, |v102|, v22                        // 000000006190: D1D30316 045ACD64
	v_max3_f32 v23, |v101|, |v103|, v23                        // 000000006198: D1D30317 045ECF65
	v_max3_f32 v22, |v104|, |v106|, v22                        // 0000000061A0: D1D30316 045AD568
	v_max3_f32 v23, |v105|, |v107|, v23                        // 0000000061A8: D1D30317 045ED769
	v_max3_f32 v22, |v108|, |v110|, v22                        // 0000000061B0: D1D30316 045ADD6C
	v_max3_f32 v23, |v109|, |v111|, v23                        // 0000000061B8: D1D30317 045EDF6D
	v_max3_f32 v22, |v112|, |v114|, v22                        // 0000000061C0: D1D30316 045AE570
	v_max3_f32 v23, |v113|, |v115|, v23                        // 0000000061C8: D1D30317 045EE771
	v_max3_f32 v22, |v116|, |v118|, v22                        // 0000000061D0: D1D30316 045AED74
	v_max3_f32 v23, |v117|, |v119|, v23                        // 0000000061D8: D1D30317 045EEF75
	v_max3_f32 v22, |v120|, |v122|, v22                        // 0000000061E0: D1D30316 045AF578
	v_max3_f32 v23, |v121|, |v123|, v23                        // 0000000061E8: D1D30317 045EF779
	v_max3_f32 v22, |v124|, |v126|, v22                        // 0000000061F0: D1D30316 045AFD7C
	v_max3_f32 v23, |v125|, |v127|, v23                        // 0000000061F8: D1D30317 045EFF7D
	v_rcp_f32_e32 v22, v22                                     // 000000006200: 7E2C4516
	v_rcp_f32_e32 v23, v23                                     // 000000006204: 7E2E4517
	v_mul_f32_e32 v22, 0x42fe0000, v22                         // 000000006208: 0A2C2CFF 42FE0000
	v_mul_f32_e32 v23, 0x42fe0000, v23                         // 000000006210: 0A2E2EFF 42FE0000
	v_mul_f32_e32 v128, v22, v128                              // 000000006218: 0B010116
	v_mul_f32_e32 v129, v22, v129                              // 00000000621C: 0B030316
	v_mul_f32_e32 v130, v22, v130                              // 000000006220: 0B050516
	v_mul_f32_e32 v131, v22, v131                              // 000000006224: 0B070716
	v_cvt_i32_f32_e32 v128, v128                               // 000000006228: 7F001180
	v_cvt_i32_f32_e32 v129, v129                               // 00000000622C: 7F021181
	v_cvt_i32_f32_e32 v130, v130                               // 000000006230: 7F041182
	v_cvt_i32_f32_e32 v131, v131                               // 000000006234: 7F061183
	v_perm_b32 v128, v129, v128, s53                           // 000000006238: D1ED0080 00D70181
	v_perm_b32 v128, v130, v128, s54                           // 000000006240: D1ED0080 00DB0182
	v_perm_b32 v128, v131, v128, s55                           // 000000006248: D1ED0080 00DF0183
	v_mul_f32_e32 v132, v23, v132                              // 000000006250: 0B090917
	v_mul_f32_e32 v133, v23, v133                              // 000000006254: 0B0B0B17
	v_mul_f32_e32 v134, v23, v134                              // 000000006258: 0B0D0D17
	v_mul_f32_e32 v135, v23, v135                              // 00000000625C: 0B0F0F17
	v_cvt_i32_f32_e32 v132, v132                               // 000000006260: 7F081184
	v_cvt_i32_f32_e32 v133, v133                               // 000000006264: 7F0A1185
	v_cvt_i32_f32_e32 v134, v134                               // 000000006268: 7F0C1186
	v_cvt_i32_f32_e32 v135, v135                               // 00000000626C: 7F0E1187
	v_perm_b32 v129, v133, v132, s53                           // 000000006270: D1ED0081 00D70985
	v_perm_b32 v129, v134, v129, s54                           // 000000006278: D1ED0081 00DB0386
	v_perm_b32 v129, v135, v129, s55                           // 000000006280: D1ED0081 00DF0387
	v_mul_f32_e32 v136, v22, v136                              // 000000006288: 0B111116
	v_mul_f32_e32 v137, v22, v137                              // 00000000628C: 0B131316
	v_mul_f32_e32 v138, v22, v138                              // 000000006290: 0B151516
	v_mul_f32_e32 v139, v22, v139                              // 000000006294: 0B171716
	v_cvt_i32_f32_e32 v136, v136                               // 000000006298: 7F101188
	v_cvt_i32_f32_e32 v137, v137                               // 00000000629C: 7F121189
	v_cvt_i32_f32_e32 v138, v138                               // 0000000062A0: 7F14118A
	v_cvt_i32_f32_e32 v139, v139                               // 0000000062A4: 7F16118B
	v_perm_b32 v130, v137, v136, s53                           // 0000000062A8: D1ED0082 00D71189
	v_perm_b32 v130, v138, v130, s54                           // 0000000062B0: D1ED0082 00DB058A
	v_perm_b32 v130, v139, v130, s55                           // 0000000062B8: D1ED0082 00DF058B
	v_mul_f32_e32 v140, v23, v140                              // 0000000062C0: 0B191917
	v_mul_f32_e32 v141, v23, v141                              // 0000000062C4: 0B1B1B17
	v_mul_f32_e32 v142, v23, v142                              // 0000000062C8: 0B1D1D17
	v_mul_f32_e32 v143, v23, v143                              // 0000000062CC: 0B1F1F17
	v_cvt_i32_f32_e32 v140, v140                               // 0000000062D0: 7F18118C
	v_cvt_i32_f32_e32 v141, v141                               // 0000000062D4: 7F1A118D
	v_cvt_i32_f32_e32 v142, v142                               // 0000000062D8: 7F1C118E
	v_cvt_i32_f32_e32 v143, v143                               // 0000000062DC: 7F1E118F
	v_perm_b32 v131, v141, v140, s53                           // 0000000062E0: D1ED0083 00D7198D
	v_perm_b32 v131, v142, v131, s54                           // 0000000062E8: D1ED0083 00DB078E
	v_perm_b32 v131, v143, v131, s55                           // 0000000062F0: D1ED0083 00DF078F
	v_mul_f32_e32 v144, v22, v144                              // 0000000062F8: 0B212116
	v_mul_f32_e32 v145, v22, v145                              // 0000000062FC: 0B232316
	v_mul_f32_e32 v146, v22, v146                              // 000000006300: 0B252516
	v_mul_f32_e32 v147, v22, v147                              // 000000006304: 0B272716
	v_cvt_i32_f32_e32 v144, v144                               // 000000006308: 7F201190
	v_cvt_i32_f32_e32 v145, v145                               // 00000000630C: 7F221191
	v_cvt_i32_f32_e32 v146, v146                               // 000000006310: 7F241192
	v_cvt_i32_f32_e32 v147, v147                               // 000000006314: 7F261193
	v_perm_b32 v132, v145, v144, s53                           // 000000006318: D1ED0084 00D72191
	v_perm_b32 v132, v146, v132, s54                           // 000000006320: D1ED0084 00DB0992
	v_perm_b32 v132, v147, v132, s55                           // 000000006328: D1ED0084 00DF0993
	v_mul_f32_e32 v148, v23, v148                              // 000000006330: 0B292917
	v_mul_f32_e32 v149, v23, v149                              // 000000006334: 0B2B2B17
	v_mul_f32_e32 v150, v23, v150                              // 000000006338: 0B2D2D17
	v_mul_f32_e32 v151, v23, v151                              // 00000000633C: 0B2F2F17
	v_cvt_i32_f32_e32 v148, v148                               // 000000006340: 7F281194
	v_cvt_i32_f32_e32 v149, v149                               // 000000006344: 7F2A1195
	v_cvt_i32_f32_e32 v150, v150                               // 000000006348: 7F2C1196
	v_cvt_i32_f32_e32 v151, v151                               // 00000000634C: 7F2E1197
	v_perm_b32 v133, v149, v148, s53                           // 000000006350: D1ED0085 00D72995
	v_perm_b32 v133, v150, v133, s54                           // 000000006358: D1ED0085 00DB0B96
	v_perm_b32 v133, v151, v133, s55                           // 000000006360: D1ED0085 00DF0B97
	v_mul_f32_e32 v152, v22, v152                              // 000000006368: 0B313116
	v_mul_f32_e32 v153, v22, v153                              // 00000000636C: 0B333316
	v_mul_f32_e32 v154, v22, v154                              // 000000006370: 0B353516
	v_mul_f32_e32 v155, v22, v155                              // 000000006374: 0B373716
	v_cvt_i32_f32_e32 v152, v152                               // 000000006378: 7F301198
	v_cvt_i32_f32_e32 v153, v153                               // 00000000637C: 7F321199
	v_cvt_i32_f32_e32 v154, v154                               // 000000006380: 7F34119A
	v_cvt_i32_f32_e32 v155, v155                               // 000000006384: 7F36119B
	v_perm_b32 v134, v153, v152, s53                           // 000000006388: D1ED0086 00D73199
	v_perm_b32 v134, v154, v134, s54                           // 000000006390: D1ED0086 00DB0D9A
	v_perm_b32 v134, v155, v134, s55                           // 000000006398: D1ED0086 00DF0D9B
	v_mul_f32_e32 v156, v23, v156                              // 0000000063A0: 0B393917
	v_mul_f32_e32 v157, v23, v157                              // 0000000063A4: 0B3B3B17
	v_mul_f32_e32 v158, v23, v158                              // 0000000063A8: 0B3D3D17
	v_mul_f32_e32 v159, v23, v159                              // 0000000063AC: 0B3F3F17
	v_cvt_i32_f32_e32 v156, v156                               // 0000000063B0: 7F38119C
	v_cvt_i32_f32_e32 v157, v157                               // 0000000063B4: 7F3A119D
	v_cvt_i32_f32_e32 v158, v158                               // 0000000063B8: 7F3C119E
	v_cvt_i32_f32_e32 v159, v159                               // 0000000063BC: 7F3E119F
	v_perm_b32 v135, v157, v156, s53                           // 0000000063C0: D1ED0087 00D7399D
	v_perm_b32 v135, v158, v135, s54                           // 0000000063C8: D1ED0087 00DB0F9E
	v_perm_b32 v135, v159, v135, s55                           // 0000000063D0: D1ED0087 00DF0F9F
	v_mul_f32_e32 v160, v22, v160                              // 0000000063D8: 0B414116
	v_mul_f32_e32 v161, v22, v161                              // 0000000063DC: 0B434316
	v_mul_f32_e32 v162, v22, v162                              // 0000000063E0: 0B454516
	v_mul_f32_e32 v163, v22, v163                              // 0000000063E4: 0B474716
	v_cvt_i32_f32_e32 v160, v160                               // 0000000063E8: 7F4011A0
	v_cvt_i32_f32_e32 v161, v161                               // 0000000063EC: 7F4211A1
	v_cvt_i32_f32_e32 v162, v162                               // 0000000063F0: 7F4411A2
	v_cvt_i32_f32_e32 v163, v163                               // 0000000063F4: 7F4611A3
	v_perm_b32 v136, v161, v160, s53                           // 0000000063F8: D1ED0088 00D741A1
	v_perm_b32 v136, v162, v136, s54                           // 000000006400: D1ED0088 00DB11A2
	v_perm_b32 v136, v163, v136, s55                           // 000000006408: D1ED0088 00DF11A3
	v_mul_f32_e32 v164, v23, v164                              // 000000006410: 0B494917
	v_mul_f32_e32 v165, v23, v165                              // 000000006414: 0B4B4B17
	v_mul_f32_e32 v166, v23, v166                              // 000000006418: 0B4D4D17
	v_mul_f32_e32 v167, v23, v167                              // 00000000641C: 0B4F4F17
	v_cvt_i32_f32_e32 v164, v164                               // 000000006420: 7F4811A4
	v_cvt_i32_f32_e32 v165, v165                               // 000000006424: 7F4A11A5
	v_cvt_i32_f32_e32 v166, v166                               // 000000006428: 7F4C11A6
	v_cvt_i32_f32_e32 v167, v167                               // 00000000642C: 7F4E11A7
	v_perm_b32 v137, v165, v164, s53                           // 000000006430: D1ED0089 00D749A5
	v_perm_b32 v137, v166, v137, s54                           // 000000006438: D1ED0089 00DB13A6
	v_perm_b32 v137, v167, v137, s55                           // 000000006440: D1ED0089 00DF13A7
	v_mul_f32_e32 v168, v22, v168                              // 000000006448: 0B515116
	v_mul_f32_e32 v169, v22, v169                              // 00000000644C: 0B535316
	v_mul_f32_e32 v170, v22, v170                              // 000000006450: 0B555516
	v_mul_f32_e32 v171, v22, v171                              // 000000006454: 0B575716
	v_cvt_i32_f32_e32 v168, v168                               // 000000006458: 7F5011A8
	v_cvt_i32_f32_e32 v169, v169                               // 00000000645C: 7F5211A9
	v_cvt_i32_f32_e32 v170, v170                               // 000000006460: 7F5411AA
	v_cvt_i32_f32_e32 v171, v171                               // 000000006464: 7F5611AB
	v_perm_b32 v138, v169, v168, s53                           // 000000006468: D1ED008A 00D751A9
	v_perm_b32 v138, v170, v138, s54                           // 000000006470: D1ED008A 00DB15AA
	v_perm_b32 v138, v171, v138, s55                           // 000000006478: D1ED008A 00DF15AB
	v_mul_f32_e32 v172, v23, v172                              // 000000006480: 0B595917
	v_mul_f32_e32 v173, v23, v173                              // 000000006484: 0B5B5B17
	v_mul_f32_e32 v174, v23, v174                              // 000000006488: 0B5D5D17
	v_mul_f32_e32 v175, v23, v175                              // 00000000648C: 0B5F5F17
	v_cvt_i32_f32_e32 v172, v172                               // 000000006490: 7F5811AC
	v_cvt_i32_f32_e32 v173, v173                               // 000000006494: 7F5A11AD
	v_cvt_i32_f32_e32 v174, v174                               // 000000006498: 7F5C11AE
	v_cvt_i32_f32_e32 v175, v175                               // 00000000649C: 7F5E11AF
	v_perm_b32 v139, v173, v172, s53                           // 0000000064A0: D1ED008B 00D759AD
	v_perm_b32 v139, v174, v139, s54                           // 0000000064A8: D1ED008B 00DB17AE
	v_perm_b32 v139, v175, v139, s55                           // 0000000064B0: D1ED008B 00DF17AF
	v_mul_f32_e32 v176, v22, v176                              // 0000000064B8: 0B616116
	v_mul_f32_e32 v177, v22, v177                              // 0000000064BC: 0B636316
	v_mul_f32_e32 v178, v22, v178                              // 0000000064C0: 0B656516
	v_mul_f32_e32 v179, v22, v179                              // 0000000064C4: 0B676716
	v_cvt_i32_f32_e32 v176, v176                               // 0000000064C8: 7F6011B0
	v_cvt_i32_f32_e32 v177, v177                               // 0000000064CC: 7F6211B1
	v_cvt_i32_f32_e32 v178, v178                               // 0000000064D0: 7F6411B2
	v_cvt_i32_f32_e32 v179, v179                               // 0000000064D4: 7F6611B3
	v_perm_b32 v140, v177, v176, s53                           // 0000000064D8: D1ED008C 00D761B1
	v_perm_b32 v140, v178, v140, s54                           // 0000000064E0: D1ED008C 00DB19B2
	v_perm_b32 v140, v179, v140, s55                           // 0000000064E8: D1ED008C 00DF19B3
	v_mul_f32_e32 v180, v23, v180                              // 0000000064F0: 0B696917
	v_mul_f32_e32 v181, v23, v181                              // 0000000064F4: 0B6B6B17
	v_mul_f32_e32 v182, v23, v182                              // 0000000064F8: 0B6D6D17
	v_mul_f32_e32 v183, v23, v183                              // 0000000064FC: 0B6F6F17
	v_cvt_i32_f32_e32 v180, v180                               // 000000006500: 7F6811B4
	v_cvt_i32_f32_e32 v181, v181                               // 000000006504: 7F6A11B5
	v_cvt_i32_f32_e32 v182, v182                               // 000000006508: 7F6C11B6
	v_cvt_i32_f32_e32 v183, v183                               // 00000000650C: 7F6E11B7
	v_perm_b32 v141, v181, v180, s53                           // 000000006510: D1ED008D 00D769B5
	v_perm_b32 v141, v182, v141, s54                           // 000000006518: D1ED008D 00DB1BB6
	v_perm_b32 v141, v183, v141, s55                           // 000000006520: D1ED008D 00DF1BB7
	v_rcp_f32_e32 v24, v22                                     // 000000006528: 7E304516
	v_rcp_f32_e32 v25, v23                                     // 00000000652C: 7E324517
	v_lshrrev_b32_e32 v52, 5, v0                               // 000000006530: 20680085
	v_lshlrev_b32_e32 v53, 5, v52                              // 000000006534: 246A6885
	v_and_b32_e32 v52, 31, v0                                  // 000000006538: 2668009F
	v_lshrrev_b32_e32 v54, 4, v52                              // 00000000653C: 206C6884
	v_add_u32_e32 v53, v54, v53                                // 000000006540: 686A6B36
	v_and_b32_e32 v52, 15, v0                                  // 000000006544: 2668008F
	v_lshlrev_b32_e32 v52, 1, v52                              // 000000006548: 24686881
	v_add_u32_e32 v53, v52, v53                                // 00000000654C: 686A6B34
	v_lshlrev_b32_e32 v52, 2, v53                              // 000000006550: 24686A82
	s_mul_i32 s60, 0x100, s7                                   // 000000006554: 923C07FF 00000100
	v_add_u32_e64 v52, v52, s60                                // 00000000655C: D1340034 00007934
	ds_write_b32 v52, v128 offset:18688                        // 000000006564: D81A4900 00008034
	ds_write_b32 v52, v129 offset:25856                        // 00000000656C: D81A6500 00008134
	ds_write_b32 v52, v130 offset:19712                        // 000000006574: D81A4D00 00008234
	ds_write_b32 v52, v131 offset:26880                        // 00000000657C: D81A6900 00008334
	ds_write_b32 v52, v132 offset:20736                        // 000000006584: D81A5100 00008434
	ds_write_b32 v52, v133 offset:27904                        // 00000000658C: D81A6D00 00008534
	ds_write_b32 v52, v134 offset:21760                        // 000000006594: D81A5500 00008634
	ds_write_b32 v52, v135 offset:28928                        // 00000000659C: D81A7100 00008734
	ds_write_b32 v52, v136 offset:22784                        // 0000000065A4: D81A5900 00008834
	ds_write_b32 v52, v137 offset:29952                        // 0000000065AC: D81A7500 00008934
	ds_write_b32 v52, v138 offset:23808                        // 0000000065B4: D81A5D00 00008A34
	ds_write_b32 v52, v139 offset:30976                        // 0000000065BC: D81A7900 00008B34
	ds_write_b32 v52, v140 offset:24832                        // 0000000065C4: D81A6100 00008C34
	ds_write_b32 v52, v141 offset:32000                        // 0000000065CC: D81A7D00 00008D34
	s_waitcnt lgkmcnt(0)                                       // 0000000065D4: BF8CC07F
	s_barrier                                                  // 0000000065D8: BF8A0000
	v_lshrrev_b32_e32 v52, 4, v0                               // 0000000065DC: 20680084
	v_lshlrev_b32_e32 v53, 6, v52                              // 0000000065E0: 246A6886
	v_and_b32_e32 v52, 15, v0                                  // 0000000065E4: 2668008F
	v_lshlrev_b32_e32 v52, 1, v52                              // 0000000065E8: 24686881
	v_add_u32_e32 v53, v52, v53                                // 0000000065EC: 686A6B34
	v_lshlrev_b32_e32 v52, 2, v53                              // 0000000065F0: 24686A82
	ds_read_b64 v[128:129], v52 offset:18688                   // 0000000065F4: D8EC4900 80000034
	ds_read_b64 v[130:131], v52 offset:18816                   // 0000000065FC: D8EC4980 82000034
	ds_read_b64 v[132:133], v52 offset:19712                   // 000000006604: D8EC4D00 84000034
	ds_read_b64 v[134:135], v52 offset:19840                   // 00000000660C: D8EC4D80 86000034
	ds_read_b64 v[136:137], v52 offset:20736                   // 000000006614: D8EC5100 88000034
	ds_read_b64 v[138:139], v52 offset:20864                   // 00000000661C: D8EC5180 8A000034
	ds_read_b64 v[140:141], v52 offset:21760                   // 000000006624: D8EC5500 8C000034
	ds_read_b64 v[142:143], v52 offset:21888                   // 00000000662C: D8EC5580 8E000034
	ds_read_b64 v[144:145], v52 offset:22784                   // 000000006634: D8EC5900 90000034
	ds_read_b64 v[146:147], v52 offset:22912                   // 00000000663C: D8EC5980 92000034
	ds_read_b64 v[148:149], v52 offset:23808                   // 000000006644: D8EC5D00 94000034
	ds_read_b64 v[150:151], v52 offset:23936                   // 00000000664C: D8EC5D80 96000034
	ds_read_b64 v[152:153], v52 offset:24832                   // 000000006654: D8EC6100 98000034
	ds_read_b64 v[154:155], v52 offset:24960                   // 00000000665C: D8EC6180 9A000034
	ds_read_b64 v[156:157], v52 offset:25856                   // 000000006664: D8EC6500 9C000034
	ds_read_b64 v[158:159], v52 offset:25984                   // 00000000666C: D8EC6580 9E000034
	ds_read_b64 v[160:161], v52 offset:26880                   // 000000006674: D8EC6900 A0000034
	ds_read_b64 v[162:163], v52 offset:27008                   // 00000000667C: D8EC6980 A2000034
	ds_read_b64 v[164:165], v52 offset:27904                   // 000000006684: D8EC6D00 A4000034
	ds_read_b64 v[166:167], v52 offset:28032                   // 00000000668C: D8EC6D80 A6000034
	ds_read_b64 v[168:169], v52 offset:28928                   // 000000006694: D8EC7100 A8000034
	ds_read_b64 v[170:171], v52 offset:29056                   // 00000000669C: D8EC7180 AA000034
	ds_read_b64 v[172:173], v52 offset:29952                   // 0000000066A4: D8EC7500 AC000034
	ds_read_b64 v[174:175], v52 offset:30080                   // 0000000066AC: D8EC7580 AE000034
	ds_read_b64 v[176:177], v52 offset:30976                   // 0000000066B4: D8EC7900 B0000034
	ds_read_b64 v[178:179], v52 offset:31104                   // 0000000066BC: D8EC7980 B2000034
	ds_read_b64 v[180:181], v52 offset:32000                   // 0000000066C4: D8EC7D00 B4000034
	ds_read_b64 v[182:183], v52 offset:32128                   // 0000000066CC: D8EC7D80 B6000034
	s_add_u32 s12, s56, s12                                    // 0000000066D4: 800C0C38
	s_addc_u32 s13, 0, s13                                     // 0000000066D8: 820D0D80
	s_add_u32 s16, s79, s16                                    // 0000000066DC: 8010104F
	s_addc_u32 s17, 0, s17                                     // 0000000066E0: 82111180
	s_mov_b32 s80, 0                                           // 0000000066E4: BED00080
	s_waitcnt vmcnt(0) expcnt(0) lgkmcnt(0)                    // 0000000066E8: BF8C0000

00000000000066ec <label_0E3B>:
	s_waitcnt vmcnt(41)                                        // 0000000066EC: BF8C8F79
	s_barrier                                                  // 0000000066F0: BF8A0000
	v_mfma_i32_16x16x32_i8 v[184:187], a[0:1], v[128:129], 0   // 0000000066F4: D3D700B8 0A030100
	v_mfma_i32_16x16x32_i8 v[184:187], a[2:3], v[130:131], v[184:187]// 0000000066FC: D3D700B8 0EE30502
	buffer_load_dwordx4 a[112:115], v41, s[12:15], 0 offen     // 000000006704: E05C1000 80837029
	v_mfma_i32_16x16x32_i8 v[188:191], a[0:1], v[156:157], 0   // 00000000670C: D3D700BC 0A033900
	v_mfma_i32_16x16x32_i8 v[188:191], a[2:3], v[158:159], v[188:191]// 000000006714: D3D700BC 0EF33D02
	v_mfma_i32_16x16x32_i8 v[192:195], a[4:5], v[128:129], 0   // 00000000671C: D3D700C0 0A030104
	v_mfma_i32_16x16x32_i8 v[192:195], a[6:7], v[130:131], v[192:195]// 000000006724: D3D700C0 0F030506
	buffer_load_dwordx4 a[116:119], v42, s[12:15], 0 offen     // 00000000672C: E05C1000 8083742A
	v_mfma_i32_16x16x32_i8 v[196:199], a[4:5], v[156:157], 0   // 000000006734: D3D700C4 0A033904
	v_mfma_i32_16x16x32_i8 v[196:199], a[6:7], v[158:159], v[196:199]// 00000000673C: D3D700C4 0F133D06
	v_mfma_i32_16x16x32_i8 v[200:203], a[8:9], v[128:129], 0   // 000000006744: D3D700C8 0A030108
	v_mfma_i32_16x16x32_i8 v[200:203], a[10:11], v[130:131], v[200:203]// 00000000674C: D3D700C8 0F23050A
	buffer_load_dwordx4 a[120:123], v43, s[12:15], 0 offen     // 000000006754: E05C1000 8083782B
	v_mfma_i32_16x16x32_i8 v[204:207], a[8:9], v[156:157], 0   // 00000000675C: D3D700CC 0A033908
	v_mfma_i32_16x16x32_i8 v[204:207], a[10:11], v[158:159], v[204:207]// 000000006764: D3D700CC 0F333D0A
	v_mfma_i32_16x16x32_i8 v[208:211], a[12:13], v[128:129], 0 // 00000000676C: D3D700D0 0A03010C
	v_mfma_i32_16x16x32_i8 v[208:211], a[14:15], v[130:131], v[208:211]// 000000006774: D3D700D0 0F43050E
	buffer_load_dwordx4 a[124:127], v44, s[12:15], 0 offen     // 00000000677C: E05C1000 80837C2C
	s_add_u32 s12, s78, s12                                    // 000000006784: 800C0C4E
	s_addc_u32 s13, 0, s13                                     // 000000006788: 820D0D80
	v_mfma_i32_16x16x32_i8 v[212:215], a[12:13], v[156:157], 0 // 00000000678C: D3D700D4 0A03390C
	v_mfma_i32_16x16x32_i8 v[212:215], a[14:15], v[158:159], v[212:215]// 000000006794: D3D700D4 0F533D0E
	s_waitcnt vmcnt(41)                                        // 00000000679C: BF8C8F79
	v_mfma_i32_16x16x32_i8 v[184:187], a[16:17], v[132:133], v[184:187]// 0000000067A0: D3D700B8 0EE30910
	v_mfma_i32_16x16x32_i8 v[184:187], a[18:19], v[134:135], v[184:187]// 0000000067A8: D3D700B8 0EE30D12
	buffer_load_dwordx4 a[128:131], v41, s[12:15], 0 offen     // 0000000067B0: E05C1000 80838029
	v_mfma_i32_16x16x32_i8 v[188:191], a[16:17], v[160:161], v[188:191]// 0000000067B8: D3D700BC 0EF34110
	v_mfma_i32_16x16x32_i8 v[188:191], a[18:19], v[162:163], v[188:191]// 0000000067C0: D3D700BC 0EF34512
	v_mfma_i32_16x16x32_i8 v[192:195], a[20:21], v[132:133], v[192:195]// 0000000067C8: D3D700C0 0F030914
	v_mfma_i32_16x16x32_i8 v[192:195], a[22:23], v[134:135], v[192:195]// 0000000067D0: D3D700C0 0F030D16
	buffer_load_dwordx4 a[132:135], v42, s[12:15], 0 offen     // 0000000067D8: E05C1000 8083842A
	v_mfma_i32_16x16x32_i8 v[196:199], a[20:21], v[160:161], v[196:199]// 0000000067E0: D3D700C4 0F134114
	v_mfma_i32_16x16x32_i8 v[196:199], a[22:23], v[162:163], v[196:199]// 0000000067E8: D3D700C4 0F134516
	v_mfma_i32_16x16x32_i8 v[200:203], a[24:25], v[132:133], v[200:203]// 0000000067F0: D3D700C8 0F230918
	v_mfma_i32_16x16x32_i8 v[200:203], a[26:27], v[134:135], v[200:203]// 0000000067F8: D3D700C8 0F230D1A
	buffer_load_dwordx4 a[136:139], v43, s[12:15], 0 offen     // 000000006800: E05C1000 8083882B
	v_mfma_i32_16x16x32_i8 v[204:207], a[24:25], v[160:161], v[204:207]// 000000006808: D3D700CC 0F334118
	v_mfma_i32_16x16x32_i8 v[204:207], a[26:27], v[162:163], v[204:207]// 000000006810: D3D700CC 0F33451A
	v_mfma_i32_16x16x32_i8 v[208:211], a[28:29], v[132:133], v[208:211]// 000000006818: D3D700D0 0F43091C
	v_mfma_i32_16x16x32_i8 v[208:211], a[30:31], v[134:135], v[208:211]// 000000006820: D3D700D0 0F430D1E
	buffer_load_dwordx4 a[140:143], v44, s[12:15], 0 offen     // 000000006828: E05C1000 80838C2C
	s_add_u32 s12, s78, s12                                    // 000000006830: 800C0C4E
	s_addc_u32 s13, 0, s13                                     // 000000006834: 820D0D80
	v_mfma_i32_16x16x32_i8 v[212:215], a[28:29], v[160:161], v[212:215]// 000000006838: D3D700D4 0F53411C
	v_mfma_i32_16x16x32_i8 v[212:215], a[30:31], v[162:163], v[212:215]// 000000006840: D3D700D4 0F53451E
	s_waitcnt vmcnt(41)                                        // 000000006848: BF8C8F79
	v_mfma_i32_16x16x32_i8 v[184:187], a[32:33], v[136:137], v[184:187]// 00000000684C: D3D700B8 0EE31120
	v_mfma_i32_16x16x32_i8 v[184:187], a[34:35], v[138:139], v[184:187]// 000000006854: D3D700B8 0EE31522
	buffer_load_dwordx4 a[144:147], v41, s[12:15], 0 offen     // 00000000685C: E05C1000 80839029
	v_mfma_i32_16x16x32_i8 v[188:191], a[32:33], v[164:165], v[188:191]// 000000006864: D3D700BC 0EF34920
	v_mfma_i32_16x16x32_i8 v[188:191], a[34:35], v[166:167], v[188:191]// 00000000686C: D3D700BC 0EF34D22
	v_mfma_i32_16x16x32_i8 v[192:195], a[36:37], v[136:137], v[192:195]// 000000006874: D3D700C0 0F031124
	v_mfma_i32_16x16x32_i8 v[192:195], a[38:39], v[138:139], v[192:195]// 00000000687C: D3D700C0 0F031526
	buffer_load_dwordx4 a[148:151], v42, s[12:15], 0 offen     // 000000006884: E05C1000 8083942A
	v_mfma_i32_16x16x32_i8 v[196:199], a[36:37], v[164:165], v[196:199]// 00000000688C: D3D700C4 0F134924
	v_mfma_i32_16x16x32_i8 v[196:199], a[38:39], v[166:167], v[196:199]// 000000006894: D3D700C4 0F134D26
	v_mfma_i32_16x16x32_i8 v[200:203], a[40:41], v[136:137], v[200:203]// 00000000689C: D3D700C8 0F231128
	v_mfma_i32_16x16x32_i8 v[200:203], a[42:43], v[138:139], v[200:203]// 0000000068A4: D3D700C8 0F23152A
	buffer_load_dwordx4 a[152:155], v43, s[12:15], 0 offen     // 0000000068AC: E05C1000 8083982B
	v_mfma_i32_16x16x32_i8 v[204:207], a[40:41], v[164:165], v[204:207]// 0000000068B4: D3D700CC 0F334928
	v_mfma_i32_16x16x32_i8 v[204:207], a[42:43], v[166:167], v[204:207]// 0000000068BC: D3D700CC 0F334D2A
	v_mfma_i32_16x16x32_i8 v[208:211], a[44:45], v[136:137], v[208:211]// 0000000068C4: D3D700D0 0F43112C
	v_mfma_i32_16x16x32_i8 v[208:211], a[46:47], v[138:139], v[208:211]// 0000000068CC: D3D700D0 0F43152E
	buffer_load_dwordx4 a[156:159], v44, s[12:15], 0 offen     // 0000000068D4: E05C1000 80839C2C
	s_add_u32 s12, s78, s12                                    // 0000000068DC: 800C0C4E
	s_addc_u32 s13, 0, s13                                     // 0000000068E0: 820D0D80
	v_mfma_i32_16x16x32_i8 v[212:215], a[44:45], v[164:165], v[212:215]// 0000000068E4: D3D700D4 0F53492C
	v_mfma_i32_16x16x32_i8 v[212:215], a[46:47], v[166:167], v[212:215]// 0000000068EC: D3D700D4 0F534D2E
	s_waitcnt vmcnt(41)                                        // 0000000068F4: BF8C8F79
	v_mfma_i32_16x16x32_i8 v[184:187], a[48:49], v[140:141], v[184:187]// 0000000068F8: D3D700B8 0EE31930
	v_mfma_i32_16x16x32_i8 v[184:187], a[50:51], v[142:143], v[184:187]// 000000006900: D3D700B8 0EE31D32
	buffer_load_dwordx4 a[160:163], v41, s[12:15], 0 offen     // 000000006908: E05C1000 8083A029
	v_mfma_i32_16x16x32_i8 v[188:191], a[48:49], v[168:169], v[188:191]// 000000006910: D3D700BC 0EF35130
	v_mfma_i32_16x16x32_i8 v[188:191], a[50:51], v[170:171], v[188:191]// 000000006918: D3D700BC 0EF35532
	v_mfma_i32_16x16x32_i8 v[192:195], a[52:53], v[140:141], v[192:195]// 000000006920: D3D700C0 0F031934
	v_mfma_i32_16x16x32_i8 v[192:195], a[54:55], v[142:143], v[192:195]// 000000006928: D3D700C0 0F031D36
	buffer_load_dwordx4 a[164:167], v42, s[12:15], 0 offen     // 000000006930: E05C1000 8083A42A
	v_mfma_i32_16x16x32_i8 v[196:199], a[52:53], v[168:169], v[196:199]// 000000006938: D3D700C4 0F135134
	v_mfma_i32_16x16x32_i8 v[196:199], a[54:55], v[170:171], v[196:199]// 000000006940: D3D700C4 0F135536
	v_mfma_i32_16x16x32_i8 v[200:203], a[56:57], v[140:141], v[200:203]// 000000006948: D3D700C8 0F231938
	v_mfma_i32_16x16x32_i8 v[200:203], a[58:59], v[142:143], v[200:203]// 000000006950: D3D700C8 0F231D3A
	buffer_load_dwordx4 a[168:171], v43, s[12:15], 0 offen     // 000000006958: E05C1000 8083A82B
	v_mfma_i32_16x16x32_i8 v[204:207], a[56:57], v[168:169], v[204:207]// 000000006960: D3D700CC 0F335138
	v_mfma_i32_16x16x32_i8 v[204:207], a[58:59], v[170:171], v[204:207]// 000000006968: D3D700CC 0F33553A
	v_mfma_i32_16x16x32_i8 v[208:211], a[60:61], v[140:141], v[208:211]// 000000006970: D3D700D0 0F43193C
	v_mfma_i32_16x16x32_i8 v[208:211], a[62:63], v[142:143], v[208:211]// 000000006978: D3D700D0 0F431D3E
	buffer_load_dwordx4 a[172:175], v44, s[12:15], 0 offen     // 000000006980: E05C1000 8083AC2C
	s_add_u32 s12, s78, s12                                    // 000000006988: 800C0C4E
	s_addc_u32 s13, 0, s13                                     // 00000000698C: 820D0D80
	v_mfma_i32_16x16x32_i8 v[212:215], a[60:61], v[168:169], v[212:215]// 000000006990: D3D700D4 0F53513C
	v_mfma_i32_16x16x32_i8 v[212:215], a[62:63], v[170:171], v[212:215]// 000000006998: D3D700D4 0F53553E
	s_waitcnt vmcnt(41)                                        // 0000000069A0: BF8C8F79
	v_mfma_i32_16x16x32_i8 v[184:187], a[64:65], v[144:145], v[184:187]// 0000000069A4: D3D700B8 0EE32140
	v_mfma_i32_16x16x32_i8 v[184:187], a[66:67], v[146:147], v[184:187]// 0000000069AC: D3D700B8 0EE32542
	buffer_load_dwordx4 a[176:179], v41, s[12:15], 0 offen     // 0000000069B4: E05C1000 8083B029
	v_mfma_i32_16x16x32_i8 v[188:191], a[64:65], v[172:173], v[188:191]// 0000000069BC: D3D700BC 0EF35940
	v_mfma_i32_16x16x32_i8 v[188:191], a[66:67], v[174:175], v[188:191]// 0000000069C4: D3D700BC 0EF35D42
	v_mfma_i32_16x16x32_i8 v[192:195], a[68:69], v[144:145], v[192:195]// 0000000069CC: D3D700C0 0F032144
	v_mfma_i32_16x16x32_i8 v[192:195], a[70:71], v[146:147], v[192:195]// 0000000069D4: D3D700C0 0F032546
	buffer_load_dwordx4 a[180:183], v42, s[12:15], 0 offen     // 0000000069DC: E05C1000 8083B42A
	v_mfma_i32_16x16x32_i8 v[196:199], a[68:69], v[172:173], v[196:199]// 0000000069E4: D3D700C4 0F135944
	v_mfma_i32_16x16x32_i8 v[196:199], a[70:71], v[174:175], v[196:199]// 0000000069EC: D3D700C4 0F135D46
	v_mfma_i32_16x16x32_i8 v[200:203], a[72:73], v[144:145], v[200:203]// 0000000069F4: D3D700C8 0F232148
	v_mfma_i32_16x16x32_i8 v[200:203], a[74:75], v[146:147], v[200:203]// 0000000069FC: D3D700C8 0F23254A
	buffer_load_dwordx4 a[184:187], v43, s[12:15], 0 offen     // 000000006A04: E05C1000 8083B82B
	v_mfma_i32_16x16x32_i8 v[204:207], a[72:73], v[172:173], v[204:207]// 000000006A0C: D3D700CC 0F335948
	v_mfma_i32_16x16x32_i8 v[204:207], a[74:75], v[174:175], v[204:207]// 000000006A14: D3D700CC 0F335D4A
	v_mfma_i32_16x16x32_i8 v[208:211], a[76:77], v[144:145], v[208:211]// 000000006A1C: D3D700D0 0F43214C
	v_mfma_i32_16x16x32_i8 v[208:211], a[78:79], v[146:147], v[208:211]// 000000006A24: D3D700D0 0F43254E
	buffer_load_dwordx4 a[188:191], v44, s[12:15], 0 offen     // 000000006A2C: E05C1000 8083BC2C
	s_add_u32 s12, s78, s12                                    // 000000006A34: 800C0C4E
	s_addc_u32 s13, 0, s13                                     // 000000006A38: 820D0D80
	v_mfma_i32_16x16x32_i8 v[212:215], a[76:77], v[172:173], v[212:215]// 000000006A3C: D3D700D4 0F53594C
	v_mfma_i32_16x16x32_i8 v[212:215], a[78:79], v[174:175], v[212:215]// 000000006A44: D3D700D4 0F535D4E
	s_waitcnt vmcnt(41)                                        // 000000006A4C: BF8C8F79
	v_mfma_i32_16x16x32_i8 v[184:187], a[80:81], v[148:149], v[184:187]// 000000006A50: D3D700B8 0EE32950
	v_mfma_i32_16x16x32_i8 v[184:187], a[82:83], v[150:151], v[184:187]// 000000006A58: D3D700B8 0EE32D52
	buffer_load_dwordx4 a[192:195], v41, s[12:15], 0 offen     // 000000006A60: E05C1000 8083C029
	v_mfma_i32_16x16x32_i8 v[188:191], a[80:81], v[176:177], v[188:191]// 000000006A68: D3D700BC 0EF36150
	v_mfma_i32_16x16x32_i8 v[188:191], a[82:83], v[178:179], v[188:191]// 000000006A70: D3D700BC 0EF36552
	v_mfma_i32_16x16x32_i8 v[192:195], a[84:85], v[148:149], v[192:195]// 000000006A78: D3D700C0 0F032954
	v_mfma_i32_16x16x32_i8 v[192:195], a[86:87], v[150:151], v[192:195]// 000000006A80: D3D700C0 0F032D56
	buffer_load_dwordx4 a[196:199], v42, s[12:15], 0 offen     // 000000006A88: E05C1000 8083C42A
	v_mfma_i32_16x16x32_i8 v[196:199], a[84:85], v[176:177], v[196:199]// 000000006A90: D3D700C4 0F136154
	v_mfma_i32_16x16x32_i8 v[196:199], a[86:87], v[178:179], v[196:199]// 000000006A98: D3D700C4 0F136556
	v_mfma_i32_16x16x32_i8 v[200:203], a[88:89], v[148:149], v[200:203]// 000000006AA0: D3D700C8 0F232958
	v_mfma_i32_16x16x32_i8 v[200:203], a[90:91], v[150:151], v[200:203]// 000000006AA8: D3D700C8 0F232D5A
	buffer_load_dwordx4 a[200:203], v43, s[12:15], 0 offen     // 000000006AB0: E05C1000 8083C82B
	v_mfma_i32_16x16x32_i8 v[204:207], a[88:89], v[176:177], v[204:207]// 000000006AB8: D3D700CC 0F336158
	v_mfma_i32_16x16x32_i8 v[204:207], a[90:91], v[178:179], v[204:207]// 000000006AC0: D3D700CC 0F33655A
	v_mfma_i32_16x16x32_i8 v[208:211], a[92:93], v[148:149], v[208:211]// 000000006AC8: D3D700D0 0F43295C
	v_mfma_i32_16x16x32_i8 v[208:211], a[94:95], v[150:151], v[208:211]// 000000006AD0: D3D700D0 0F432D5E
	buffer_load_dwordx4 a[204:207], v44, s[12:15], 0 offen     // 000000006AD8: E05C1000 8083CC2C
	s_add_u32 s12, s78, s12                                    // 000000006AE0: 800C0C4E
	s_addc_u32 s13, 0, s13                                     // 000000006AE4: 820D0D80
	v_mfma_i32_16x16x32_i8 v[212:215], a[92:93], v[176:177], v[212:215]// 000000006AE8: D3D700D4 0F53615C
	v_mfma_i32_16x16x32_i8 v[212:215], a[94:95], v[178:179], v[212:215]// 000000006AF0: D3D700D4 0F53655E
	s_waitcnt vmcnt(40)                                        // 000000006AF8: BF8C8F78
	v_mfma_i32_16x16x32_i8 v[184:187], a[96:97], v[152:153], v[184:187]// 000000006AFC: D3D700B8 0EE33160
	v_mfma_i32_16x16x32_i8 v[184:187], a[98:99], v[154:155], v[184:187]// 000000006B04: D3D700B8 0EE33562
	buffer_load_dwordx4 a[208:211], v41, s[12:15], 0 offen     // 000000006B0C: E05C1000 8083D029
	v_mfma_i32_16x16x32_i8 v[188:191], a[96:97], v[180:181], v[188:191]// 000000006B14: D3D700BC 0EF36960
	v_mfma_i32_16x16x32_i8 v[188:191], a[98:99], v[182:183], v[188:191]// 000000006B1C: D3D700BC 0EF36D62
	buffer_load_dword v13, v5, s[16:19], 0 offen               // 000000006B24: E0501000 80040D05
	v_mfma_i32_16x16x32_i8 v[192:195], a[100:101], v[152:153], v[192:195]// 000000006B2C: D3D700C0 0F033164
	v_mfma_i32_16x16x32_i8 v[192:195], a[102:103], v[154:155], v[192:195]// 000000006B34: D3D700C0 0F033566
	buffer_load_dwordx4 a[212:215], v42, s[12:15], 0 offen     // 000000006B3C: E05C1000 8083D42A
	v_mfma_i32_16x16x32_i8 v[196:199], a[100:101], v[180:181], v[196:199]// 000000006B44: D3D700C4 0F136964
	v_mfma_i32_16x16x32_i8 v[196:199], a[102:103], v[182:183], v[196:199]// 000000006B4C: D3D700C4 0F136D66
	v_mfma_i32_16x16x32_i8 v[200:203], a[104:105], v[152:153], v[200:203]// 000000006B54: D3D700C8 0F233168
	v_mfma_i32_16x16x32_i8 v[200:203], a[106:107], v[154:155], v[200:203]// 000000006B5C: D3D700C8 0F23356A
	buffer_load_dwordx4 a[216:219], v43, s[12:15], 0 offen     // 000000006B64: E05C1000 8083D82B
	v_mfma_i32_16x16x32_i8 v[204:207], a[104:105], v[180:181], v[204:207]// 000000006B6C: D3D700CC 0F336968
	v_mfma_i32_16x16x32_i8 v[204:207], a[106:107], v[182:183], v[204:207]// 000000006B74: D3D700CC 0F336D6A
	v_mfma_i32_16x16x32_i8 v[208:211], a[108:109], v[152:153], v[208:211]// 000000006B7C: D3D700D0 0F43316C
	v_mfma_i32_16x16x32_i8 v[208:211], a[110:111], v[154:155], v[208:211]// 000000006B84: D3D700D0 0F43356E
	buffer_load_dwordx4 a[220:223], v44, s[12:15], 0 offen     // 000000006B8C: E05C1000 8083DC2C
	v_mfma_i32_16x16x32_i8 v[212:215], a[108:109], v[180:181], v[212:215]// 000000006B94: D3D700D4 0F53696C
	v_mfma_i32_16x16x32_i8 v[212:215], a[110:111], v[182:183], v[212:215]// 000000006B9C: D3D700D4 0F536D6E
	s_add_u32 s60, 0x200, s80                                  // 000000006BA4: 803C50FF 00000200
	s_cmp_lt_u32 s60, s81                                      // 000000006BAC: BF0A513C
	s_cselect_b32 s56, s56, 0                                  // 000000006BB0: 85388038
	s_cselect_b32 s78, s78, 0                                  // 000000006BB4: 854E804E
	s_cselect_b32 s79, s79, 0                                  // 000000006BB8: 854F804F
	s_add_u32 s12, s56, s12                                    // 000000006BBC: 800C0C38
	s_addc_u32 s13, 0, s13                                     // 000000006BC0: 820D0D80
	s_add_u32 s16, s79, s16                                    // 000000006BC4: 8010104F
	s_addc_u32 s17, 0, s17                                     // 000000006BC8: 82111180
	v_cvt_f32_i32_e32 v184, v184                               // 000000006BCC: 7F700BB8
	v_cvt_f32_i32_e32 v185, v185                               // 000000006BD0: 7F720BB9
	v_cvt_f32_i32_e32 v186, v186                               // 000000006BD4: 7F740BBA
	v_cvt_f32_i32_e32 v187, v187                               // 000000006BD8: 7F760BBB
	v_mul_f32_e32 v184, v24, v184                              // 000000006BDC: 0B717118
	v_mul_f32_e32 v185, v24, v185                              // 000000006BE0: 0B737318
	v_mul_f32_e32 v186, v24, v186                              // 000000006BE4: 0B757518
	v_mul_f32_e32 v187, v24, v187                              // 000000006BE8: 0B777718
	v_mul_f32_dpp v184, v12, v184 row_newbcast:0 row_mask:0xf bank_mask:0xf// 000000006BEC: 0B7170FA FF01500C
	v_mul_f32_dpp v185, v12, v185 row_newbcast:1 row_mask:0xf bank_mask:0xf// 000000006BF4: 0B7372FA FF01510C
	v_mul_f32_dpp v186, v12, v186 row_newbcast:2 row_mask:0xf bank_mask:0xf// 000000006BFC: 0B7574FA FF01520C
	v_mul_f32_dpp v187, v12, v187 row_newbcast:3 row_mask:0xf bank_mask:0xf// 000000006C04: 0B7776FA FF01530C
	v_mul_f32_e32 v184, v20, v184                              // 000000006C0C: 0B717114
	v_mul_f32_e32 v185, v20, v185                              // 000000006C10: 0B737314
	v_mul_f32_e32 v186, v20, v186                              // 000000006C14: 0B757514
	v_mul_f32_e32 v187, v20, v187                              // 000000006C18: 0B777714
	v_cvt_f32_i32_e32 v188, v188                               // 000000006C1C: 7F780BBC
	v_cvt_f32_i32_e32 v189, v189                               // 000000006C20: 7F7A0BBD
	v_cvt_f32_i32_e32 v190, v190                               // 000000006C24: 7F7C0BBE
	v_cvt_f32_i32_e32 v191, v191                               // 000000006C28: 7F7E0BBF
	v_mul_f32_e32 v188, v25, v188                              // 000000006C2C: 0B797919
	v_mul_f32_e32 v189, v25, v189                              // 000000006C30: 0B7B7B19
	v_mul_f32_e32 v190, v25, v190                              // 000000006C34: 0B7D7D19
	v_mul_f32_e32 v191, v25, v191                              // 000000006C38: 0B7F7F19
	v_mul_f32_dpp v188, v12, v188 row_newbcast:0 row_mask:0xf bank_mask:0xf// 000000006C3C: 0B7978FA FF01500C
	v_mul_f32_dpp v189, v12, v189 row_newbcast:1 row_mask:0xf bank_mask:0xf// 000000006C44: 0B7B7AFA FF01510C
	v_mul_f32_dpp v190, v12, v190 row_newbcast:2 row_mask:0xf bank_mask:0xf// 000000006C4C: 0B7D7CFA FF01520C
	v_mul_f32_dpp v191, v12, v191 row_newbcast:3 row_mask:0xf bank_mask:0xf// 000000006C54: 0B7F7EFA FF01530C
	v_mul_f32_e32 v188, v21, v188                              // 000000006C5C: 0B797915
	v_mul_f32_e32 v189, v21, v189                              // 000000006C60: 0B7B7B15
	v_mul_f32_e32 v190, v21, v190                              // 000000006C64: 0B7D7D15
	v_mul_f32_e32 v191, v21, v191                              // 000000006C68: 0B7F7F15
	v_cvt_f32_i32_e32 v192, v192                               // 000000006C6C: 7F800BC0
	v_cvt_f32_i32_e32 v193, v193                               // 000000006C70: 7F820BC1
	v_cvt_f32_i32_e32 v194, v194                               // 000000006C74: 7F840BC2
	v_cvt_f32_i32_e32 v195, v195                               // 000000006C78: 7F860BC3
	v_mul_f32_e32 v192, v24, v192                              // 000000006C7C: 0B818118
	v_mul_f32_e32 v193, v24, v193                              // 000000006C80: 0B838318
	v_mul_f32_e32 v194, v24, v194                              // 000000006C84: 0B858518
	v_mul_f32_e32 v195, v24, v195                              // 000000006C88: 0B878718
	v_mul_f32_dpp v192, v12, v192 row_newbcast:4 row_mask:0xf bank_mask:0xf// 000000006C8C: 0B8180FA FF01540C
	v_mul_f32_dpp v193, v12, v193 row_newbcast:5 row_mask:0xf bank_mask:0xf// 000000006C94: 0B8382FA FF01550C
	v_mul_f32_dpp v194, v12, v194 row_newbcast:6 row_mask:0xf bank_mask:0xf// 000000006C9C: 0B8584FA FF01560C
	v_mul_f32_dpp v195, v12, v195 row_newbcast:7 row_mask:0xf bank_mask:0xf// 000000006CA4: 0B8786FA FF01570C
	v_mul_f32_e32 v192, v20, v192                              // 000000006CAC: 0B818114
	v_mul_f32_e32 v193, v20, v193                              // 000000006CB0: 0B838314
	v_mul_f32_e32 v194, v20, v194                              // 000000006CB4: 0B858514
	v_mul_f32_e32 v195, v20, v195                              // 000000006CB8: 0B878714
	v_cvt_f32_i32_e32 v196, v196                               // 000000006CBC: 7F880BC4
	v_cvt_f32_i32_e32 v197, v197                               // 000000006CC0: 7F8A0BC5
	v_cvt_f32_i32_e32 v198, v198                               // 000000006CC4: 7F8C0BC6
	v_cvt_f32_i32_e32 v199, v199                               // 000000006CC8: 7F8E0BC7
	v_mul_f32_e32 v196, v25, v196                              // 000000006CCC: 0B898919
	v_mul_f32_e32 v197, v25, v197                              // 000000006CD0: 0B8B8B19
	v_mul_f32_e32 v198, v25, v198                              // 000000006CD4: 0B8D8D19
	v_mul_f32_e32 v199, v25, v199                              // 000000006CD8: 0B8F8F19
	v_mul_f32_dpp v196, v12, v196 row_newbcast:4 row_mask:0xf bank_mask:0xf// 000000006CDC: 0B8988FA FF01540C
	v_mul_f32_dpp v197, v12, v197 row_newbcast:5 row_mask:0xf bank_mask:0xf// 000000006CE4: 0B8B8AFA FF01550C
	v_mul_f32_dpp v198, v12, v198 row_newbcast:6 row_mask:0xf bank_mask:0xf// 000000006CEC: 0B8D8CFA FF01560C
	v_mul_f32_dpp v199, v12, v199 row_newbcast:7 row_mask:0xf bank_mask:0xf// 000000006CF4: 0B8F8EFA FF01570C
	v_mul_f32_e32 v196, v21, v196                              // 000000006CFC: 0B898915
	v_mul_f32_e32 v197, v21, v197                              // 000000006D00: 0B8B8B15
	v_mul_f32_e32 v198, v21, v198                              // 000000006D04: 0B8D8D15
	v_mul_f32_e32 v199, v21, v199                              // 000000006D08: 0B8F8F15
	v_cvt_f32_i32_e32 v200, v200                               // 000000006D0C: 7F900BC8
	v_cvt_f32_i32_e32 v201, v201                               // 000000006D10: 7F920BC9
	v_cvt_f32_i32_e32 v202, v202                               // 000000006D14: 7F940BCA
	v_cvt_f32_i32_e32 v203, v203                               // 000000006D18: 7F960BCB
	v_mul_f32_e32 v200, v24, v200                              // 000000006D1C: 0B919118
	v_mul_f32_e32 v201, v24, v201                              // 000000006D20: 0B939318
	v_mul_f32_e32 v202, v24, v202                              // 000000006D24: 0B959518
	v_mul_f32_e32 v203, v24, v203                              // 000000006D28: 0B979718
	v_mul_f32_dpp v200, v12, v200 row_newbcast:8 row_mask:0xf bank_mask:0xf// 000000006D2C: 0B9190FA FF01580C
	v_mul_f32_dpp v201, v12, v201 row_newbcast:9 row_mask:0xf bank_mask:0xf// 000000006D34: 0B9392FA FF01590C
	v_mul_f32_dpp v202, v12, v202 row_newbcast:10 row_mask:0xf bank_mask:0xf// 000000006D3C: 0B9594FA FF015A0C
	v_mul_f32_dpp v203, v12, v203 row_newbcast:11 row_mask:0xf bank_mask:0xf// 000000006D44: 0B9796FA FF015B0C
	v_mul_f32_e32 v200, v20, v200                              // 000000006D4C: 0B919114
	v_mul_f32_e32 v201, v20, v201                              // 000000006D50: 0B939314
	v_mul_f32_e32 v202, v20, v202                              // 000000006D54: 0B959514
	v_mul_f32_e32 v203, v20, v203                              // 000000006D58: 0B979714
	v_cvt_f32_i32_e32 v204, v204                               // 000000006D5C: 7F980BCC
	v_cvt_f32_i32_e32 v205, v205                               // 000000006D60: 7F9A0BCD
	v_cvt_f32_i32_e32 v206, v206                               // 000000006D64: 7F9C0BCE
	v_cvt_f32_i32_e32 v207, v207                               // 000000006D68: 7F9E0BCF
	v_mul_f32_e32 v204, v25, v204                              // 000000006D6C: 0B999919
	v_mul_f32_e32 v205, v25, v205                              // 000000006D70: 0B9B9B19
	v_mul_f32_e32 v206, v25, v206                              // 000000006D74: 0B9D9D19
	v_mul_f32_e32 v207, v25, v207                              // 000000006D78: 0B9F9F19
	v_mul_f32_dpp v204, v12, v204 row_newbcast:8 row_mask:0xf bank_mask:0xf// 000000006D7C: 0B9998FA FF01580C
	v_mul_f32_dpp v205, v12, v205 row_newbcast:9 row_mask:0xf bank_mask:0xf// 000000006D84: 0B9B9AFA FF01590C
	v_mul_f32_dpp v206, v12, v206 row_newbcast:10 row_mask:0xf bank_mask:0xf// 000000006D8C: 0B9D9CFA FF015A0C
	v_mul_f32_dpp v207, v12, v207 row_newbcast:11 row_mask:0xf bank_mask:0xf// 000000006D94: 0B9F9EFA FF015B0C
	v_mul_f32_e32 v204, v21, v204                              // 000000006D9C: 0B999915
	v_mul_f32_e32 v205, v21, v205                              // 000000006DA0: 0B9B9B15
	v_mul_f32_e32 v206, v21, v206                              // 000000006DA4: 0B9D9D15
	v_mul_f32_e32 v207, v21, v207                              // 000000006DA8: 0B9F9F15
	v_cvt_f32_i32_e32 v208, v208                               // 000000006DAC: 7FA00BD0
	v_cvt_f32_i32_e32 v209, v209                               // 000000006DB0: 7FA20BD1
	v_cvt_f32_i32_e32 v210, v210                               // 000000006DB4: 7FA40BD2
	v_cvt_f32_i32_e32 v211, v211                               // 000000006DB8: 7FA60BD3
	v_mul_f32_e32 v208, v24, v208                              // 000000006DBC: 0BA1A118
	v_mul_f32_e32 v209, v24, v209                              // 000000006DC0: 0BA3A318
	v_mul_f32_e32 v210, v24, v210                              // 000000006DC4: 0BA5A518
	v_mul_f32_e32 v211, v24, v211                              // 000000006DC8: 0BA7A718
	v_mul_f32_dpp v208, v12, v208 row_newbcast:12 row_mask:0xf bank_mask:0xf// 000000006DCC: 0BA1A0FA FF015C0C
	v_mul_f32_dpp v209, v12, v209 row_newbcast:13 row_mask:0xf bank_mask:0xf// 000000006DD4: 0BA3A2FA FF015D0C
	v_mul_f32_dpp v210, v12, v210 row_newbcast:14 row_mask:0xf bank_mask:0xf// 000000006DDC: 0BA5A4FA FF015E0C
	v_mul_f32_dpp v211, v12, v211 row_newbcast:15 row_mask:0xf bank_mask:0xf// 000000006DE4: 0BA7A6FA FF015F0C
	v_mul_f32_e32 v208, v20, v208                              // 000000006DEC: 0BA1A114
	v_mul_f32_e32 v209, v20, v209                              // 000000006DF0: 0BA3A314
	v_mul_f32_e32 v210, v20, v210                              // 000000006DF4: 0BA5A514
	v_mul_f32_e32 v211, v20, v211                              // 000000006DF8: 0BA7A714
	v_cvt_f32_i32_e32 v212, v212                               // 000000006DFC: 7FA80BD4
	v_cvt_f32_i32_e32 v213, v213                               // 000000006E00: 7FAA0BD5
	v_cvt_f32_i32_e32 v214, v214                               // 000000006E04: 7FAC0BD6
	v_cvt_f32_i32_e32 v215, v215                               // 000000006E08: 7FAE0BD7
	v_mul_f32_e32 v212, v25, v212                              // 000000006E0C: 0BA9A919
	v_mul_f32_e32 v213, v25, v213                              // 000000006E10: 0BABAB19
	v_mul_f32_e32 v214, v25, v214                              // 000000006E14: 0BADAD19
	v_mul_f32_e32 v215, v25, v215                              // 000000006E18: 0BAFAF19
	v_mul_f32_dpp v212, v12, v212 row_newbcast:12 row_mask:0xf bank_mask:0xf// 000000006E1C: 0BA9A8FA FF015C0C
	v_mul_f32_dpp v213, v12, v213 row_newbcast:13 row_mask:0xf bank_mask:0xf// 000000006E24: 0BABAAFA FF015D0C
	v_mul_f32_dpp v214, v12, v214 row_newbcast:14 row_mask:0xf bank_mask:0xf// 000000006E2C: 0BADACFA FF015E0C
	v_mul_f32_dpp v215, v12, v215 row_newbcast:15 row_mask:0xf bank_mask:0xf// 000000006E34: 0BAFAEFA FF015F0C
	v_mul_f32_e32 v212, v21, v212                              // 000000006E3C: 0BA9A915
	v_mul_f32_e32 v213, v21, v213                              // 000000006E40: 0BABAB15
	v_mul_f32_e32 v214, v21, v214                              // 000000006E44: 0BADAD15
	v_mul_f32_e32 v215, v21, v215                              // 000000006E48: 0BAFAF15
	v_cmp_u_f32_e64 s[48:49], v184, v184                       // 000000006E4C: D0480030 000371B8
	v_add3_u32 v45, v184, v48, 1                               // 000000006E54: D1FF002D 020661B8
	v_cndmask_b32_e64 v52, v45, v47, s[48:49]                  // 000000006E5C: D1000034 00C25F2D
	v_cmp_u_f32_e64 s[48:49], v185, v185                       // 000000006E64: D0480030 000373B9
	v_add3_u32 v45, v185, v48, 1                               // 000000006E6C: D1FF002D 020661B9
	v_cndmask_b32_e64 v53, v45, v47, s[48:49]                  // 000000006E74: D1000035 00C25F2D
	v_perm_b32 v184, v53, v52, s52                             // 000000006E7C: D1ED00B8 00D26935
	v_cmp_u_f32_e64 s[48:49], v186, v186                       // 000000006E84: D0480030 000375BA
	v_add3_u32 v45, v186, v48, 1                               // 000000006E8C: D1FF002D 020661BA
	v_cndmask_b32_e64 v52, v45, v47, s[48:49]                  // 000000006E94: D1000034 00C25F2D
	v_cmp_u_f32_e64 s[48:49], v187, v187                       // 000000006E9C: D0480030 000377BB
	v_add3_u32 v45, v187, v48, 1                               // 000000006EA4: D1FF002D 020661BB
	v_cndmask_b32_e64 v53, v45, v47, s[48:49]                  // 000000006EAC: D1000035 00C25F2D
	v_perm_b32 v185, v53, v52, s52                             // 000000006EB4: D1ED00B9 00D26935
	v_cmp_u_f32_e64 s[48:49], v188, v188                       // 000000006EBC: D0480030 000379BC
	v_add3_u32 v45, v188, v48, 1                               // 000000006EC4: D1FF002D 020661BC
	v_cndmask_b32_e64 v52, v45, v47, s[48:49]                  // 000000006ECC: D1000034 00C25F2D
	v_cmp_u_f32_e64 s[48:49], v189, v189                       // 000000006ED4: D0480030 00037BBD
	v_add3_u32 v45, v189, v48, 1                               // 000000006EDC: D1FF002D 020661BD
	v_cndmask_b32_e64 v53, v45, v47, s[48:49]                  // 000000006EE4: D1000035 00C25F2D
	v_perm_b32 v186, v53, v52, s52                             // 000000006EEC: D1ED00BA 00D26935
	v_cmp_u_f32_e64 s[48:49], v190, v190                       // 000000006EF4: D0480030 00037DBE
	v_add3_u32 v45, v190, v48, 1                               // 000000006EFC: D1FF002D 020661BE
	v_cndmask_b32_e64 v52, v45, v47, s[48:49]                  // 000000006F04: D1000034 00C25F2D
	v_cmp_u_f32_e64 s[48:49], v191, v191                       // 000000006F0C: D0480030 00037FBF
	v_add3_u32 v45, v191, v48, 1                               // 000000006F14: D1FF002D 020661BF
	v_cndmask_b32_e64 v53, v45, v47, s[48:49]                  // 000000006F1C: D1000035 00C25F2D
	v_perm_b32 v187, v53, v52, s52                             // 000000006F24: D1ED00BB 00D26935
	v_cmp_u_f32_e64 s[48:49], v192, v192                       // 000000006F2C: D0480030 000381C0
	v_add3_u32 v45, v192, v48, 1                               // 000000006F34: D1FF002D 020661C0
	v_cndmask_b32_e64 v52, v45, v47, s[48:49]                  // 000000006F3C: D1000034 00C25F2D
	v_cmp_u_f32_e64 s[48:49], v193, v193                       // 000000006F44: D0480030 000383C1
	v_add3_u32 v45, v193, v48, 1                               // 000000006F4C: D1FF002D 020661C1
	v_cndmask_b32_e64 v53, v45, v47, s[48:49]                  // 000000006F54: D1000035 00C25F2D
	v_perm_b32 v188, v53, v52, s52                             // 000000006F5C: D1ED00BC 00D26935
	v_cmp_u_f32_e64 s[48:49], v194, v194                       // 000000006F64: D0480030 000385C2
	v_add3_u32 v45, v194, v48, 1                               // 000000006F6C: D1FF002D 020661C2
	v_cndmask_b32_e64 v52, v45, v47, s[48:49]                  // 000000006F74: D1000034 00C25F2D
	v_cmp_u_f32_e64 s[48:49], v195, v195                       // 000000006F7C: D0480030 000387C3
	v_add3_u32 v45, v195, v48, 1                               // 000000006F84: D1FF002D 020661C3
	v_cndmask_b32_e64 v53, v45, v47, s[48:49]                  // 000000006F8C: D1000035 00C25F2D
	v_perm_b32 v189, v53, v52, s52                             // 000000006F94: D1ED00BD 00D26935
	v_cmp_u_f32_e64 s[48:49], v196, v196                       // 000000006F9C: D0480030 000389C4
	v_add3_u32 v45, v196, v48, 1                               // 000000006FA4: D1FF002D 020661C4
	v_cndmask_b32_e64 v52, v45, v47, s[48:49]                  // 000000006FAC: D1000034 00C25F2D
	v_cmp_u_f32_e64 s[48:49], v197, v197                       // 000000006FB4: D0480030 00038BC5
	v_add3_u32 v45, v197, v48, 1                               // 000000006FBC: D1FF002D 020661C5
	v_cndmask_b32_e64 v53, v45, v47, s[48:49]                  // 000000006FC4: D1000035 00C25F2D
	v_perm_b32 v190, v53, v52, s52                             // 000000006FCC: D1ED00BE 00D26935
	v_cmp_u_f32_e64 s[48:49], v198, v198                       // 000000006FD4: D0480030 00038DC6
	v_add3_u32 v45, v198, v48, 1                               // 000000006FDC: D1FF002D 020661C6
	v_cndmask_b32_e64 v52, v45, v47, s[48:49]                  // 000000006FE4: D1000034 00C25F2D
	v_cmp_u_f32_e64 s[48:49], v199, v199                       // 000000006FEC: D0480030 00038FC7
	v_add3_u32 v45, v199, v48, 1                               // 000000006FF4: D1FF002D 020661C7
	v_cndmask_b32_e64 v53, v45, v47, s[48:49]                  // 000000006FFC: D1000035 00C25F2D
	v_perm_b32 v191, v53, v52, s52                             // 000000007004: D1ED00BF 00D26935
	v_cmp_u_f32_e64 s[48:49], v200, v200                       // 00000000700C: D0480030 000391C8
	v_add3_u32 v45, v200, v48, 1                               // 000000007014: D1FF002D 020661C8
	v_cndmask_b32_e64 v52, v45, v47, s[48:49]                  // 00000000701C: D1000034 00C25F2D
	v_cmp_u_f32_e64 s[48:49], v201, v201                       // 000000007024: D0480030 000393C9
	v_add3_u32 v45, v201, v48, 1                               // 00000000702C: D1FF002D 020661C9
	v_cndmask_b32_e64 v53, v45, v47, s[48:49]                  // 000000007034: D1000035 00C25F2D
	v_perm_b32 v192, v53, v52, s52                             // 00000000703C: D1ED00C0 00D26935
	v_cmp_u_f32_e64 s[48:49], v202, v202                       // 000000007044: D0480030 000395CA
	v_add3_u32 v45, v202, v48, 1                               // 00000000704C: D1FF002D 020661CA
	v_cndmask_b32_e64 v52, v45, v47, s[48:49]                  // 000000007054: D1000034 00C25F2D
	v_cmp_u_f32_e64 s[48:49], v203, v203                       // 00000000705C: D0480030 000397CB
	v_add3_u32 v45, v203, v48, 1                               // 000000007064: D1FF002D 020661CB
	v_cndmask_b32_e64 v53, v45, v47, s[48:49]                  // 00000000706C: D1000035 00C25F2D
	v_perm_b32 v193, v53, v52, s52                             // 000000007074: D1ED00C1 00D26935
	v_cmp_u_f32_e64 s[48:49], v204, v204                       // 00000000707C: D0480030 000399CC
	v_add3_u32 v45, v204, v48, 1                               // 000000007084: D1FF002D 020661CC
	v_cndmask_b32_e64 v52, v45, v47, s[48:49]                  // 00000000708C: D1000034 00C25F2D
	v_cmp_u_f32_e64 s[48:49], v205, v205                       // 000000007094: D0480030 00039BCD
	v_add3_u32 v45, v205, v48, 1                               // 00000000709C: D1FF002D 020661CD
	v_cndmask_b32_e64 v53, v45, v47, s[48:49]                  // 0000000070A4: D1000035 00C25F2D
	v_perm_b32 v194, v53, v52, s52                             // 0000000070AC: D1ED00C2 00D26935
	v_cmp_u_f32_e64 s[48:49], v206, v206                       // 0000000070B4: D0480030 00039DCE
	v_add3_u32 v45, v206, v48, 1                               // 0000000070BC: D1FF002D 020661CE
	v_cndmask_b32_e64 v52, v45, v47, s[48:49]                  // 0000000070C4: D1000034 00C25F2D
	v_cmp_u_f32_e64 s[48:49], v207, v207                       // 0000000070CC: D0480030 00039FCF
	v_add3_u32 v45, v207, v48, 1                               // 0000000070D4: D1FF002D 020661CF
	v_cndmask_b32_e64 v53, v45, v47, s[48:49]                  // 0000000070DC: D1000035 00C25F2D
	v_perm_b32 v195, v53, v52, s52                             // 0000000070E4: D1ED00C3 00D26935
	v_cmp_u_f32_e64 s[48:49], v208, v208                       // 0000000070EC: D0480030 0003A1D0
	v_add3_u32 v45, v208, v48, 1                               // 0000000070F4: D1FF002D 020661D0
	v_cndmask_b32_e64 v52, v45, v47, s[48:49]                  // 0000000070FC: D1000034 00C25F2D
	v_cmp_u_f32_e64 s[48:49], v209, v209                       // 000000007104: D0480030 0003A3D1
	v_add3_u32 v45, v209, v48, 1                               // 00000000710C: D1FF002D 020661D1
	v_cndmask_b32_e64 v53, v45, v47, s[48:49]                  // 000000007114: D1000035 00C25F2D
	v_perm_b32 v196, v53, v52, s52                             // 00000000711C: D1ED00C4 00D26935
	v_cmp_u_f32_e64 s[48:49], v210, v210                       // 000000007124: D0480030 0003A5D2
	v_add3_u32 v45, v210, v48, 1                               // 00000000712C: D1FF002D 020661D2
	v_cndmask_b32_e64 v52, v45, v47, s[48:49]                  // 000000007134: D1000034 00C25F2D
	v_cmp_u_f32_e64 s[48:49], v211, v211                       // 00000000713C: D0480030 0003A7D3
	v_add3_u32 v45, v211, v48, 1                               // 000000007144: D1FF002D 020661D3
	v_cndmask_b32_e64 v53, v45, v47, s[48:49]                  // 00000000714C: D1000035 00C25F2D
	v_perm_b32 v197, v53, v52, s52                             // 000000007154: D1ED00C5 00D26935
	v_cmp_u_f32_e64 s[48:49], v212, v212                       // 00000000715C: D0480030 0003A9D4
	v_add3_u32 v45, v212, v48, 1                               // 000000007164: D1FF002D 020661D4
	v_cndmask_b32_e64 v52, v45, v47, s[48:49]                  // 00000000716C: D1000034 00C25F2D
	v_cmp_u_f32_e64 s[48:49], v213, v213                       // 000000007174: D0480030 0003ABD5
	v_add3_u32 v45, v213, v48, 1                               // 00000000717C: D1FF002D 020661D5
	v_cndmask_b32_e64 v53, v45, v47, s[48:49]                  // 000000007184: D1000035 00C25F2D
	v_perm_b32 v198, v53, v52, s52                             // 00000000718C: D1ED00C6 00D26935
	v_cmp_u_f32_e64 s[48:49], v214, v214                       // 000000007194: D0480030 0003ADD6
	v_add3_u32 v45, v214, v48, 1                               // 00000000719C: D1FF002D 020661D6
	v_cndmask_b32_e64 v52, v45, v47, s[48:49]                  // 0000000071A4: D1000034 00C25F2D
	v_cmp_u_f32_e64 s[48:49], v215, v215                       // 0000000071AC: D0480030 0003AFD7
	v_add3_u32 v45, v215, v48, 1                               // 0000000071B4: D1FF002D 020661D7
	v_cndmask_b32_e64 v53, v45, v47, s[48:49]                  // 0000000071BC: D1000035 00C25F2D
	v_perm_b32 v199, v53, v52, s52                             // 0000000071C4: D1ED00C7 00D26935
	ds_write_b64 v3, v[184:185] offset:33024                   // 0000000071CC: D89A8100 0000B803
	ds_write_b64 v3, v[186:187] offset:41728                   // 0000000071D4: D89AA300 0000BA03
	ds_write_b64 v3, v[188:189] offset:35200                   // 0000000071DC: D89A8980 0000BC03
	ds_write_b64 v3, v[190:191] offset:43904                   // 0000000071E4: D89AAB80 0000BE03
	ds_write_b64 v3, v[192:193] offset:37376                   // 0000000071EC: D89A9200 0000C003
	ds_write_b64 v3, v[194:195] offset:46080                   // 0000000071F4: D89AB400 0000C203
	ds_write_b64 v3, v[196:197] offset:39552                   // 0000000071FC: D89A9A80 0000C403
	ds_write_b64 v3, v[198:199] offset:48256                   // 000000007204: D89ABC80 0000C603
	s_waitcnt lgkmcnt(0)                                       // 00000000720C: BF8CC07F
	s_barrier                                                  // 000000007210: BF8A0000
	ds_read_b32 v64, v4 offset:33024                           // 000000007214: D86C8100 40000004
	ds_read_b32 v65, v4 offset:37376                           // 00000000721C: D86C9200 41000004
	ds_read_b32 v66, v4 offset:33056                           // 000000007224: D86C8120 42000004
	ds_read_b32 v67, v4 offset:37408                           // 00000000722C: D86C9220 43000004
	ds_read_b32 v68, v4 offset:33088                           // 000000007234: D86C8140 44000004
	ds_read_b32 v69, v4 offset:37440                           // 00000000723C: D86C9240 45000004
	ds_read_b32 v70, v4 offset:33120                           // 000000007244: D86C8160 46000004
	ds_read_b32 v71, v4 offset:37472                           // 00000000724C: D86C9260 47000004
	ds_read_b32 v72, v4 offset:41728                           // 000000007254: D86CA300 48000004
	ds_read_b32 v73, v4 offset:46080                           // 00000000725C: D86CB400 49000004
	ds_read_b32 v74, v4 offset:41760                           // 000000007264: D86CA320 4A000004
	ds_read_b32 v75, v4 offset:46112                           // 00000000726C: D86CB420 4B000004
	ds_read_b32 v76, v4 offset:41792                           // 000000007274: D86CA340 4C000004
	ds_read_b32 v77, v4 offset:46144                           // 00000000727C: D86CB440 4D000004
	ds_read_b32 v78, v4 offset:41824                           // 000000007284: D86CA360 4E000004
	ds_read_b32 v79, v4 offset:46176                           // 00000000728C: D86CB460 4F000004
	s_waitcnt lgkmcnt(0)                                       // 000000007294: BF8CC07F
	s_mov_b64 exec, s[20:21]                                   // 000000007298: BEFE0114
	global_atomic_pk_add_bf16 v80, v64, s[8:9]                 // 00000000729C: DD488000 00084050
	s_mov_b64 exec, s[36:37]                                   // 0000000072A4: BEFE0124
	s_mov_b64 exec, s[20:21]                                   // 0000000072A8: BEFE0114
	global_atomic_pk_add_bf16 v80, v65, s[8:9] offset:256      // 0000000072AC: DD488100 00084150
	s_mov_b64 exec, s[36:37]                                   // 0000000072B4: BEFE0124
	s_mov_b64 exec, s[22:23]                                   // 0000000072B8: BEFE0116
	global_atomic_pk_add_bf16 v82, v66, s[8:9]                 // 0000000072BC: DD488000 00084252
	s_mov_b64 exec, s[36:37]                                   // 0000000072C4: BEFE0124
	s_mov_b64 exec, s[22:23]                                   // 0000000072C8: BEFE0116
	global_atomic_pk_add_bf16 v82, v67, s[8:9] offset:256      // 0000000072CC: DD488100 00084352
	s_mov_b64 exec, s[36:37]                                   // 0000000072D4: BEFE0124
	s_mov_b64 exec, s[24:25]                                   // 0000000072D8: BEFE0118
	global_atomic_pk_add_bf16 v84, v68, s[8:9]                 // 0000000072DC: DD488000 00084454
	s_mov_b64 exec, s[36:37]                                   // 0000000072E4: BEFE0124
	s_mov_b64 exec, s[24:25]                                   // 0000000072E8: BEFE0118
	global_atomic_pk_add_bf16 v84, v69, s[8:9] offset:256      // 0000000072EC: DD488100 00084554
	s_mov_b64 exec, s[36:37]                                   // 0000000072F4: BEFE0124
	s_mov_b64 exec, s[26:27]                                   // 0000000072F8: BEFE011A
	global_atomic_pk_add_bf16 v86, v70, s[8:9]                 // 0000000072FC: DD488000 00084656
	s_mov_b64 exec, s[36:37]                                   // 000000007304: BEFE0124
	s_mov_b64 exec, s[26:27]                                   // 000000007308: BEFE011A
	global_atomic_pk_add_bf16 v86, v71, s[8:9] offset:256      // 00000000730C: DD488100 00084756
	s_mov_b64 exec, s[36:37]                                   // 000000007314: BEFE0124
	s_mov_b64 exec, s[28:29]                                   // 000000007318: BEFE011C
	global_atomic_pk_add_bf16 v88, v72, s[8:9]                 // 00000000731C: DD488000 00084858
	s_mov_b64 exec, s[36:37]                                   // 000000007324: BEFE0124
	s_mov_b64 exec, s[28:29]                                   // 000000007328: BEFE011C
	global_atomic_pk_add_bf16 v88, v73, s[8:9] offset:256      // 00000000732C: DD488100 00084958
	s_mov_b64 exec, s[36:37]                                   // 000000007334: BEFE0124
	s_mov_b64 exec, s[30:31]                                   // 000000007338: BEFE011E
	global_atomic_pk_add_bf16 v90, v74, s[8:9]                 // 00000000733C: DD488000 00084A5A
	s_mov_b64 exec, s[36:37]                                   // 000000007344: BEFE0124
	s_mov_b64 exec, s[30:31]                                   // 000000007348: BEFE011E
	global_atomic_pk_add_bf16 v90, v75, s[8:9] offset:256      // 00000000734C: DD488100 00084B5A
	s_mov_b64 exec, s[36:37]                                   // 000000007354: BEFE0124
	s_mov_b64 exec, s[32:33]                                   // 000000007358: BEFE0120
	global_atomic_pk_add_bf16 v92, v76, s[8:9]                 // 00000000735C: DD488000 00084C5C
	s_mov_b64 exec, s[36:37]                                   // 000000007364: BEFE0124
	s_mov_b64 exec, s[32:33]                                   // 000000007368: BEFE0120
	global_atomic_pk_add_bf16 v92, v77, s[8:9] offset:256      // 00000000736C: DD488100 00084D5C
	s_mov_b64 exec, s[36:37]                                   // 000000007374: BEFE0124
	s_mov_b64 exec, s[34:35]                                   // 000000007378: BEFE0122
	global_atomic_pk_add_bf16 v94, v78, s[8:9]                 // 00000000737C: DD488000 00084E5E
	s_mov_b64 exec, s[36:37]                                   // 000000007384: BEFE0124
	s_mov_b64 exec, s[34:35]                                   // 000000007388: BEFE0122
	global_atomic_pk_add_bf16 v94, v79, s[8:9] offset:256      // 00000000738C: DD488100 00084F5E
	s_mov_b64 exec, s[36:37]                                   // 000000007394: BEFE0124
	s_add_u32 s8, s59, s8                                      // 000000007398: 8008083B
	s_addc_u32 s9, 0, s9                                       // 00000000739C: 82090980
	s_addk_i32 s80, 0x100                                      // 0000000073A0: B7500100
	s_cmp_lt_i32 s80, s81                                      // 0000000073A4: BF045150
	s_cbranch_scc0 label_149C                                  // 0000000073A8: BF840331
	s_waitcnt vmcnt(41)                                        // 0000000073AC: BF8C8F79
	s_barrier                                                  // 0000000073B0: BF8A0000
	v_mfma_i32_16x16x32_i8 v[216:219], a[112:113], v[128:129], 0// 0000000073B4: D3D700D8 0A030170
	v_mfma_i32_16x16x32_i8 v[216:219], a[114:115], v[130:131], v[216:219]// 0000000073BC: D3D700D8 0F630572
	buffer_load_dwordx4 a[0:3], v41, s[12:15], 0 offen         // 0000000073C4: E05C1000 80830029
	v_mfma_i32_16x16x32_i8 v[220:223], a[112:113], v[156:157], 0// 0000000073CC: D3D700DC 0A033970
	v_mfma_i32_16x16x32_i8 v[220:223], a[114:115], v[158:159], v[220:223]// 0000000073D4: D3D700DC 0F733D72
	v_mfma_i32_16x16x32_i8 v[224:227], a[116:117], v[128:129], 0// 0000000073DC: D3D700E0 0A030174
	v_mfma_i32_16x16x32_i8 v[224:227], a[118:119], v[130:131], v[224:227]// 0000000073E4: D3D700E0 0F830576
	buffer_load_dwordx4 a[4:7], v42, s[12:15], 0 offen         // 0000000073EC: E05C1000 8083042A
	v_mfma_i32_16x16x32_i8 v[228:231], a[116:117], v[156:157], 0// 0000000073F4: D3D700E4 0A033974
	v_mfma_i32_16x16x32_i8 v[228:231], a[118:119], v[158:159], v[228:231]// 0000000073FC: D3D700E4 0F933D76
	v_mfma_i32_16x16x32_i8 v[232:235], a[120:121], v[128:129], 0// 000000007404: D3D700E8 0A030178
	v_mfma_i32_16x16x32_i8 v[232:235], a[122:123], v[130:131], v[232:235]// 00000000740C: D3D700E8 0FA3057A
	buffer_load_dwordx4 a[8:11], v43, s[12:15], 0 offen        // 000000007414: E05C1000 8083082B
	v_mfma_i32_16x16x32_i8 v[236:239], a[120:121], v[156:157], 0// 00000000741C: D3D700EC 0A033978
	v_mfma_i32_16x16x32_i8 v[236:239], a[122:123], v[158:159], v[236:239]// 000000007424: D3D700EC 0FB33D7A
	v_mfma_i32_16x16x32_i8 v[240:243], a[124:125], v[128:129], 0// 00000000742C: D3D700F0 0A03017C
	v_mfma_i32_16x16x32_i8 v[240:243], a[126:127], v[130:131], v[240:243]// 000000007434: D3D700F0 0FC3057E
	buffer_load_dwordx4 a[12:15], v44, s[12:15], 0 offen       // 00000000743C: E05C1000 80830C2C
	s_add_u32 s12, s78, s12                                    // 000000007444: 800C0C4E
	s_addc_u32 s13, 0, s13                                     // 000000007448: 820D0D80
	v_mfma_i32_16x16x32_i8 v[244:247], a[124:125], v[156:157], 0// 00000000744C: D3D700F4 0A03397C
	v_mfma_i32_16x16x32_i8 v[244:247], a[126:127], v[158:159], v[244:247]// 000000007454: D3D700F4 0FD33D7E
	s_waitcnt vmcnt(41)                                        // 00000000745C: BF8C8F79
	v_mfma_i32_16x16x32_i8 v[216:219], a[128:129], v[132:133], v[216:219]// 000000007460: D3D700D8 0F630980
	v_mfma_i32_16x16x32_i8 v[216:219], a[130:131], v[134:135], v[216:219]// 000000007468: D3D700D8 0F630D82
	buffer_load_dwordx4 a[16:19], v41, s[12:15], 0 offen       // 000000007470: E05C1000 80831029
	v_mfma_i32_16x16x32_i8 v[220:223], a[128:129], v[160:161], v[220:223]// 000000007478: D3D700DC 0F734180
	v_mfma_i32_16x16x32_i8 v[220:223], a[130:131], v[162:163], v[220:223]// 000000007480: D3D700DC 0F734582
	v_mfma_i32_16x16x32_i8 v[224:227], a[132:133], v[132:133], v[224:227]// 000000007488: D3D700E0 0F830984
	v_mfma_i32_16x16x32_i8 v[224:227], a[134:135], v[134:135], v[224:227]// 000000007490: D3D700E0 0F830D86
	buffer_load_dwordx4 a[20:23], v42, s[12:15], 0 offen       // 000000007498: E05C1000 8083142A
	v_mfma_i32_16x16x32_i8 v[228:231], a[132:133], v[160:161], v[228:231]// 0000000074A0: D3D700E4 0F934184
	v_mfma_i32_16x16x32_i8 v[228:231], a[134:135], v[162:163], v[228:231]// 0000000074A8: D3D700E4 0F934586
	v_mfma_i32_16x16x32_i8 v[232:235], a[136:137], v[132:133], v[232:235]// 0000000074B0: D3D700E8 0FA30988
	v_mfma_i32_16x16x32_i8 v[232:235], a[138:139], v[134:135], v[232:235]// 0000000074B8: D3D700E8 0FA30D8A
	buffer_load_dwordx4 a[24:27], v43, s[12:15], 0 offen       // 0000000074C0: E05C1000 8083182B
	v_mfma_i32_16x16x32_i8 v[236:239], a[136:137], v[160:161], v[236:239]// 0000000074C8: D3D700EC 0FB34188
	v_mfma_i32_16x16x32_i8 v[236:239], a[138:139], v[162:163], v[236:239]// 0000000074D0: D3D700EC 0FB3458A
	v_mfma_i32_16x16x32_i8 v[240:243], a[140:141], v[132:133], v[240:243]// 0000000074D8: D3D700F0 0FC3098C
	v_mfma_i32_16x16x32_i8 v[240:243], a[142:143], v[134:135], v[240:243]// 0000000074E0: D3D700F0 0FC30D8E
	buffer_load_dwordx4 a[28:31], v44, s[12:15], 0 offen       // 0000000074E8: E05C1000 80831C2C
	s_add_u32 s12, s78, s12                                    // 0000000074F0: 800C0C4E
	s_addc_u32 s13, 0, s13                                     // 0000000074F4: 820D0D80
	v_mfma_i32_16x16x32_i8 v[244:247], a[140:141], v[160:161], v[244:247]// 0000000074F8: D3D700F4 0FD3418C
	v_mfma_i32_16x16x32_i8 v[244:247], a[142:143], v[162:163], v[244:247]// 000000007500: D3D700F4 0FD3458E
	s_waitcnt vmcnt(41)                                        // 000000007508: BF8C8F79
	v_mfma_i32_16x16x32_i8 v[216:219], a[144:145], v[136:137], v[216:219]// 00000000750C: D3D700D8 0F631190
	v_mfma_i32_16x16x32_i8 v[216:219], a[146:147], v[138:139], v[216:219]// 000000007514: D3D700D8 0F631592
	buffer_load_dwordx4 a[32:35], v41, s[12:15], 0 offen       // 00000000751C: E05C1000 80832029
	v_mfma_i32_16x16x32_i8 v[220:223], a[144:145], v[164:165], v[220:223]// 000000007524: D3D700DC 0F734990
	v_mfma_i32_16x16x32_i8 v[220:223], a[146:147], v[166:167], v[220:223]// 00000000752C: D3D700DC 0F734D92
	v_mfma_i32_16x16x32_i8 v[224:227], a[148:149], v[136:137], v[224:227]// 000000007534: D3D700E0 0F831194
	v_mfma_i32_16x16x32_i8 v[224:227], a[150:151], v[138:139], v[224:227]// 00000000753C: D3D700E0 0F831596
	buffer_load_dwordx4 a[36:39], v42, s[12:15], 0 offen       // 000000007544: E05C1000 8083242A
	v_mfma_i32_16x16x32_i8 v[228:231], a[148:149], v[164:165], v[228:231]// 00000000754C: D3D700E4 0F934994
	v_mfma_i32_16x16x32_i8 v[228:231], a[150:151], v[166:167], v[228:231]// 000000007554: D3D700E4 0F934D96
	v_mfma_i32_16x16x32_i8 v[232:235], a[152:153], v[136:137], v[232:235]// 00000000755C: D3D700E8 0FA31198
	v_mfma_i32_16x16x32_i8 v[232:235], a[154:155], v[138:139], v[232:235]// 000000007564: D3D700E8 0FA3159A
	buffer_load_dwordx4 a[40:43], v43, s[12:15], 0 offen       // 00000000756C: E05C1000 8083282B
	v_mfma_i32_16x16x32_i8 v[236:239], a[152:153], v[164:165], v[236:239]// 000000007574: D3D700EC 0FB34998
	v_mfma_i32_16x16x32_i8 v[236:239], a[154:155], v[166:167], v[236:239]// 00000000757C: D3D700EC 0FB34D9A
	v_mfma_i32_16x16x32_i8 v[240:243], a[156:157], v[136:137], v[240:243]// 000000007584: D3D700F0 0FC3119C
	v_mfma_i32_16x16x32_i8 v[240:243], a[158:159], v[138:139], v[240:243]// 00000000758C: D3D700F0 0FC3159E
	buffer_load_dwordx4 a[44:47], v44, s[12:15], 0 offen       // 000000007594: E05C1000 80832C2C
	s_add_u32 s12, s78, s12                                    // 00000000759C: 800C0C4E
	s_addc_u32 s13, 0, s13                                     // 0000000075A0: 820D0D80
	v_mfma_i32_16x16x32_i8 v[244:247], a[156:157], v[164:165], v[244:247]// 0000000075A4: D3D700F4 0FD3499C
	v_mfma_i32_16x16x32_i8 v[244:247], a[158:159], v[166:167], v[244:247]// 0000000075AC: D3D700F4 0FD34D9E
	s_waitcnt vmcnt(41)                                        // 0000000075B4: BF8C8F79
	v_mfma_i32_16x16x32_i8 v[216:219], a[160:161], v[140:141], v[216:219]// 0000000075B8: D3D700D8 0F6319A0
	v_mfma_i32_16x16x32_i8 v[216:219], a[162:163], v[142:143], v[216:219]// 0000000075C0: D3D700D8 0F631DA2
	buffer_load_dwordx4 a[48:51], v41, s[12:15], 0 offen       // 0000000075C8: E05C1000 80833029
	v_mfma_i32_16x16x32_i8 v[220:223], a[160:161], v[168:169], v[220:223]// 0000000075D0: D3D700DC 0F7351A0
	v_mfma_i32_16x16x32_i8 v[220:223], a[162:163], v[170:171], v[220:223]// 0000000075D8: D3D700DC 0F7355A2
	v_mfma_i32_16x16x32_i8 v[224:227], a[164:165], v[140:141], v[224:227]// 0000000075E0: D3D700E0 0F8319A4
	v_mfma_i32_16x16x32_i8 v[224:227], a[166:167], v[142:143], v[224:227]// 0000000075E8: D3D700E0 0F831DA6
	buffer_load_dwordx4 a[52:55], v42, s[12:15], 0 offen       // 0000000075F0: E05C1000 8083342A
	v_mfma_i32_16x16x32_i8 v[228:231], a[164:165], v[168:169], v[228:231]// 0000000075F8: D3D700E4 0F9351A4
	v_mfma_i32_16x16x32_i8 v[228:231], a[166:167], v[170:171], v[228:231]// 000000007600: D3D700E4 0F9355A6
	v_mfma_i32_16x16x32_i8 v[232:235], a[168:169], v[140:141], v[232:235]// 000000007608: D3D700E8 0FA319A8
	v_mfma_i32_16x16x32_i8 v[232:235], a[170:171], v[142:143], v[232:235]// 000000007610: D3D700E8 0FA31DAA
	buffer_load_dwordx4 a[56:59], v43, s[12:15], 0 offen       // 000000007618: E05C1000 8083382B
	v_mfma_i32_16x16x32_i8 v[236:239], a[168:169], v[168:169], v[236:239]// 000000007620: D3D700EC 0FB351A8
	v_mfma_i32_16x16x32_i8 v[236:239], a[170:171], v[170:171], v[236:239]// 000000007628: D3D700EC 0FB355AA
	v_mfma_i32_16x16x32_i8 v[240:243], a[172:173], v[140:141], v[240:243]// 000000007630: D3D700F0 0FC319AC
	v_mfma_i32_16x16x32_i8 v[240:243], a[174:175], v[142:143], v[240:243]// 000000007638: D3D700F0 0FC31DAE
	buffer_load_dwordx4 a[60:63], v44, s[12:15], 0 offen       // 000000007640: E05C1000 80833C2C
	s_add_u32 s12, s78, s12                                    // 000000007648: 800C0C4E
	s_addc_u32 s13, 0, s13                                     // 00000000764C: 820D0D80
	v_mfma_i32_16x16x32_i8 v[244:247], a[172:173], v[168:169], v[244:247]// 000000007650: D3D700F4 0FD351AC
	v_mfma_i32_16x16x32_i8 v[244:247], a[174:175], v[170:171], v[244:247]// 000000007658: D3D700F4 0FD355AE
	s_waitcnt vmcnt(41)                                        // 000000007660: BF8C8F79
	v_mfma_i32_16x16x32_i8 v[216:219], a[176:177], v[144:145], v[216:219]// 000000007664: D3D700D8 0F6321B0
	v_mfma_i32_16x16x32_i8 v[216:219], a[178:179], v[146:147], v[216:219]// 00000000766C: D3D700D8 0F6325B2
	buffer_load_dwordx4 a[64:67], v41, s[12:15], 0 offen       // 000000007674: E05C1000 80834029
	v_mfma_i32_16x16x32_i8 v[220:223], a[176:177], v[172:173], v[220:223]// 00000000767C: D3D700DC 0F7359B0
	v_mfma_i32_16x16x32_i8 v[220:223], a[178:179], v[174:175], v[220:223]// 000000007684: D3D700DC 0F735DB2
	v_mfma_i32_16x16x32_i8 v[224:227], a[180:181], v[144:145], v[224:227]// 00000000768C: D3D700E0 0F8321B4
	v_mfma_i32_16x16x32_i8 v[224:227], a[182:183], v[146:147], v[224:227]// 000000007694: D3D700E0 0F8325B6
	buffer_load_dwordx4 a[68:71], v42, s[12:15], 0 offen       // 00000000769C: E05C1000 8083442A
	v_mfma_i32_16x16x32_i8 v[228:231], a[180:181], v[172:173], v[228:231]// 0000000076A4: D3D700E4 0F9359B4
	v_mfma_i32_16x16x32_i8 v[228:231], a[182:183], v[174:175], v[228:231]// 0000000076AC: D3D700E4 0F935DB6
	v_mfma_i32_16x16x32_i8 v[232:235], a[184:185], v[144:145], v[232:235]// 0000000076B4: D3D700E8 0FA321B8
	v_mfma_i32_16x16x32_i8 v[232:235], a[186:187], v[146:147], v[232:235]// 0000000076BC: D3D700E8 0FA325BA
	buffer_load_dwordx4 a[72:75], v43, s[12:15], 0 offen       // 0000000076C4: E05C1000 8083482B
	v_mfma_i32_16x16x32_i8 v[236:239], a[184:185], v[172:173], v[236:239]// 0000000076CC: D3D700EC 0FB359B8
	v_mfma_i32_16x16x32_i8 v[236:239], a[186:187], v[174:175], v[236:239]// 0000000076D4: D3D700EC 0FB35DBA
	v_mfma_i32_16x16x32_i8 v[240:243], a[188:189], v[144:145], v[240:243]// 0000000076DC: D3D700F0 0FC321BC
	v_mfma_i32_16x16x32_i8 v[240:243], a[190:191], v[146:147], v[240:243]// 0000000076E4: D3D700F0 0FC325BE
	buffer_load_dwordx4 a[76:79], v44, s[12:15], 0 offen       // 0000000076EC: E05C1000 80834C2C
	s_add_u32 s12, s78, s12                                    // 0000000076F4: 800C0C4E
	s_addc_u32 s13, 0, s13                                     // 0000000076F8: 820D0D80
	v_mfma_i32_16x16x32_i8 v[244:247], a[188:189], v[172:173], v[244:247]// 0000000076FC: D3D700F4 0FD359BC
	v_mfma_i32_16x16x32_i8 v[244:247], a[190:191], v[174:175], v[244:247]// 000000007704: D3D700F4 0FD35DBE
	s_waitcnt vmcnt(41)                                        // 00000000770C: BF8C8F79
	v_mfma_i32_16x16x32_i8 v[216:219], a[192:193], v[148:149], v[216:219]// 000000007710: D3D700D8 0F6329C0
	v_mfma_i32_16x16x32_i8 v[216:219], a[194:195], v[150:151], v[216:219]// 000000007718: D3D700D8 0F632DC2
	buffer_load_dwordx4 a[80:83], v41, s[12:15], 0 offen       // 000000007720: E05C1000 80835029
	v_mfma_i32_16x16x32_i8 v[220:223], a[192:193], v[176:177], v[220:223]// 000000007728: D3D700DC 0F7361C0
	v_mfma_i32_16x16x32_i8 v[220:223], a[194:195], v[178:179], v[220:223]// 000000007730: D3D700DC 0F7365C2
	v_mfma_i32_16x16x32_i8 v[224:227], a[196:197], v[148:149], v[224:227]// 000000007738: D3D700E0 0F8329C4
	v_mfma_i32_16x16x32_i8 v[224:227], a[198:199], v[150:151], v[224:227]// 000000007740: D3D700E0 0F832DC6
	buffer_load_dwordx4 a[84:87], v42, s[12:15], 0 offen       // 000000007748: E05C1000 8083542A
	v_mfma_i32_16x16x32_i8 v[228:231], a[196:197], v[176:177], v[228:231]// 000000007750: D3D700E4 0F9361C4
	v_mfma_i32_16x16x32_i8 v[228:231], a[198:199], v[178:179], v[228:231]// 000000007758: D3D700E4 0F9365C6
	v_mfma_i32_16x16x32_i8 v[232:235], a[200:201], v[148:149], v[232:235]// 000000007760: D3D700E8 0FA329C8
	v_mfma_i32_16x16x32_i8 v[232:235], a[202:203], v[150:151], v[232:235]// 000000007768: D3D700E8 0FA32DCA
	buffer_load_dwordx4 a[88:91], v43, s[12:15], 0 offen       // 000000007770: E05C1000 8083582B
	v_mfma_i32_16x16x32_i8 v[236:239], a[200:201], v[176:177], v[236:239]// 000000007778: D3D700EC 0FB361C8
	v_mfma_i32_16x16x32_i8 v[236:239], a[202:203], v[178:179], v[236:239]// 000000007780: D3D700EC 0FB365CA
	v_mfma_i32_16x16x32_i8 v[240:243], a[204:205], v[148:149], v[240:243]// 000000007788: D3D700F0 0FC329CC
	v_mfma_i32_16x16x32_i8 v[240:243], a[206:207], v[150:151], v[240:243]// 000000007790: D3D700F0 0FC32DCE
	buffer_load_dwordx4 a[92:95], v44, s[12:15], 0 offen       // 000000007798: E05C1000 80835C2C
	s_add_u32 s12, s78, s12                                    // 0000000077A0: 800C0C4E
	s_addc_u32 s13, 0, s13                                     // 0000000077A4: 820D0D80
	v_mfma_i32_16x16x32_i8 v[244:247], a[204:205], v[176:177], v[244:247]// 0000000077A8: D3D700F4 0FD361CC
	v_mfma_i32_16x16x32_i8 v[244:247], a[206:207], v[178:179], v[244:247]// 0000000077B0: D3D700F4 0FD365CE
	s_waitcnt vmcnt(40)                                        // 0000000077B8: BF8C8F78
	v_mfma_i32_16x16x32_i8 v[216:219], a[208:209], v[152:153], v[216:219]// 0000000077BC: D3D700D8 0F6331D0
	v_mfma_i32_16x16x32_i8 v[216:219], a[210:211], v[154:155], v[216:219]// 0000000077C4: D3D700D8 0F6335D2
	buffer_load_dwordx4 a[96:99], v41, s[12:15], 0 offen       // 0000000077CC: E05C1000 80836029
	v_mfma_i32_16x16x32_i8 v[220:223], a[208:209], v[180:181], v[220:223]// 0000000077D4: D3D700DC 0F7369D0
	v_mfma_i32_16x16x32_i8 v[220:223], a[210:211], v[182:183], v[220:223]// 0000000077DC: D3D700DC 0F736DD2
	buffer_load_dword v12, v5, s[16:19], 0 offen               // 0000000077E4: E0501000 80040C05
	v_mfma_i32_16x16x32_i8 v[224:227], a[212:213], v[152:153], v[224:227]// 0000000077EC: D3D700E0 0F8331D4
	v_mfma_i32_16x16x32_i8 v[224:227], a[214:215], v[154:155], v[224:227]// 0000000077F4: D3D700E0 0F8335D6
	buffer_load_dwordx4 a[100:103], v42, s[12:15], 0 offen     // 0000000077FC: E05C1000 8083642A
	v_mfma_i32_16x16x32_i8 v[228:231], a[212:213], v[180:181], v[228:231]// 000000007804: D3D700E4 0F9369D4
	v_mfma_i32_16x16x32_i8 v[228:231], a[214:215], v[182:183], v[228:231]// 00000000780C: D3D700E4 0F936DD6
	v_mfma_i32_16x16x32_i8 v[232:235], a[216:217], v[152:153], v[232:235]// 000000007814: D3D700E8 0FA331D8
	v_mfma_i32_16x16x32_i8 v[232:235], a[218:219], v[154:155], v[232:235]// 00000000781C: D3D700E8 0FA335DA
	buffer_load_dwordx4 a[104:107], v43, s[12:15], 0 offen     // 000000007824: E05C1000 8083682B
	v_mfma_i32_16x16x32_i8 v[236:239], a[216:217], v[180:181], v[236:239]// 00000000782C: D3D700EC 0FB369D8
	v_mfma_i32_16x16x32_i8 v[236:239], a[218:219], v[182:183], v[236:239]// 000000007834: D3D700EC 0FB36DDA
	v_mfma_i32_16x16x32_i8 v[240:243], a[220:221], v[152:153], v[240:243]// 00000000783C: D3D700F0 0FC331DC
	v_mfma_i32_16x16x32_i8 v[240:243], a[222:223], v[154:155], v[240:243]// 000000007844: D3D700F0 0FC335DE
	buffer_load_dwordx4 a[108:111], v44, s[12:15], 0 offen     // 00000000784C: E05C1000 80836C2C
	v_mfma_i32_16x16x32_i8 v[244:247], a[220:221], v[180:181], v[244:247]// 000000007854: D3D700F4 0FD369DC
	v_mfma_i32_16x16x32_i8 v[244:247], a[222:223], v[182:183], v[244:247]// 00000000785C: D3D700F4 0FD36DDE
	s_add_u32 s60, 0x200, s80                                  // 000000007864: 803C50FF 00000200
	s_cmp_lt_u32 s60, s81                                      // 00000000786C: BF0A513C
	s_cselect_b32 s56, s56, 0                                  // 000000007870: 85388038
	s_cselect_b32 s78, s78, 0                                  // 000000007874: 854E804E
	s_cselect_b32 s79, s79, 0                                  // 000000007878: 854F804F
	s_add_u32 s12, s56, s12                                    // 00000000787C: 800C0C38
	s_addc_u32 s13, 0, s13                                     // 000000007880: 820D0D80
	s_add_u32 s16, s79, s16                                    // 000000007884: 8010104F
	s_addc_u32 s17, 0, s17                                     // 000000007888: 82111180
	v_cvt_f32_i32_e32 v216, v216                               // 00000000788C: 7FB00BD8
	v_cvt_f32_i32_e32 v217, v217                               // 000000007890: 7FB20BD9
	v_cvt_f32_i32_e32 v218, v218                               // 000000007894: 7FB40BDA
	v_cvt_f32_i32_e32 v219, v219                               // 000000007898: 7FB60BDB
	v_mul_f32_e32 v216, v24, v216                              // 00000000789C: 0BB1B118
	v_mul_f32_e32 v217, v24, v217                              // 0000000078A0: 0BB3B318
	v_mul_f32_e32 v218, v24, v218                              // 0000000078A4: 0BB5B518
	v_mul_f32_e32 v219, v24, v219                              // 0000000078A8: 0BB7B718
	v_mul_f32_dpp v216, v13, v216 row_newbcast:0 row_mask:0xf bank_mask:0xf// 0000000078AC: 0BB1B0FA FF01500D
	v_mul_f32_dpp v217, v13, v217 row_newbcast:1 row_mask:0xf bank_mask:0xf// 0000000078B4: 0BB3B2FA FF01510D
	v_mul_f32_dpp v218, v13, v218 row_newbcast:2 row_mask:0xf bank_mask:0xf// 0000000078BC: 0BB5B4FA FF01520D
	v_mul_f32_dpp v219, v13, v219 row_newbcast:3 row_mask:0xf bank_mask:0xf// 0000000078C4: 0BB7B6FA FF01530D
	v_mul_f32_e32 v216, v20, v216                              // 0000000078CC: 0BB1B114
	v_mul_f32_e32 v217, v20, v217                              // 0000000078D0: 0BB3B314
	v_mul_f32_e32 v218, v20, v218                              // 0000000078D4: 0BB5B514
	v_mul_f32_e32 v219, v20, v219                              // 0000000078D8: 0BB7B714
	v_cvt_f32_i32_e32 v220, v220                               // 0000000078DC: 7FB80BDC
	v_cvt_f32_i32_e32 v221, v221                               // 0000000078E0: 7FBA0BDD
	v_cvt_f32_i32_e32 v222, v222                               // 0000000078E4: 7FBC0BDE
	v_cvt_f32_i32_e32 v223, v223                               // 0000000078E8: 7FBE0BDF
	v_mul_f32_e32 v220, v25, v220                              // 0000000078EC: 0BB9B919
	v_mul_f32_e32 v221, v25, v221                              // 0000000078F0: 0BBBBB19
	v_mul_f32_e32 v222, v25, v222                              // 0000000078F4: 0BBDBD19
	v_mul_f32_e32 v223, v25, v223                              // 0000000078F8: 0BBFBF19
	v_mul_f32_dpp v220, v13, v220 row_newbcast:0 row_mask:0xf bank_mask:0xf// 0000000078FC: 0BB9B8FA FF01500D
	v_mul_f32_dpp v221, v13, v221 row_newbcast:1 row_mask:0xf bank_mask:0xf// 000000007904: 0BBBBAFA FF01510D
	v_mul_f32_dpp v222, v13, v222 row_newbcast:2 row_mask:0xf bank_mask:0xf// 00000000790C: 0BBDBCFA FF01520D
	v_mul_f32_dpp v223, v13, v223 row_newbcast:3 row_mask:0xf bank_mask:0xf// 000000007914: 0BBFBEFA FF01530D
	v_mul_f32_e32 v220, v21, v220                              // 00000000791C: 0BB9B915
	v_mul_f32_e32 v221, v21, v221                              // 000000007920: 0BBBBB15
	v_mul_f32_e32 v222, v21, v222                              // 000000007924: 0BBDBD15
	v_mul_f32_e32 v223, v21, v223                              // 000000007928: 0BBFBF15
	v_cvt_f32_i32_e32 v224, v224                               // 00000000792C: 7FC00BE0
	v_cvt_f32_i32_e32 v225, v225                               // 000000007930: 7FC20BE1
	v_cvt_f32_i32_e32 v226, v226                               // 000000007934: 7FC40BE2
	v_cvt_f32_i32_e32 v227, v227                               // 000000007938: 7FC60BE3
	v_mul_f32_e32 v224, v24, v224                              // 00000000793C: 0BC1C118
	v_mul_f32_e32 v225, v24, v225                              // 000000007940: 0BC3C318
	v_mul_f32_e32 v226, v24, v226                              // 000000007944: 0BC5C518
	v_mul_f32_e32 v227, v24, v227                              // 000000007948: 0BC7C718
	v_mul_f32_dpp v224, v13, v224 row_newbcast:4 row_mask:0xf bank_mask:0xf// 00000000794C: 0BC1C0FA FF01540D
	v_mul_f32_dpp v225, v13, v225 row_newbcast:5 row_mask:0xf bank_mask:0xf// 000000007954: 0BC3C2FA FF01550D
	v_mul_f32_dpp v226, v13, v226 row_newbcast:6 row_mask:0xf bank_mask:0xf// 00000000795C: 0BC5C4FA FF01560D
	v_mul_f32_dpp v227, v13, v227 row_newbcast:7 row_mask:0xf bank_mask:0xf// 000000007964: 0BC7C6FA FF01570D
	v_mul_f32_e32 v224, v20, v224                              // 00000000796C: 0BC1C114
	v_mul_f32_e32 v225, v20, v225                              // 000000007970: 0BC3C314
	v_mul_f32_e32 v226, v20, v226                              // 000000007974: 0BC5C514
	v_mul_f32_e32 v227, v20, v227                              // 000000007978: 0BC7C714
	v_cvt_f32_i32_e32 v228, v228                               // 00000000797C: 7FC80BE4
	v_cvt_f32_i32_e32 v229, v229                               // 000000007980: 7FCA0BE5
	v_cvt_f32_i32_e32 v230, v230                               // 000000007984: 7FCC0BE6
	v_cvt_f32_i32_e32 v231, v231                               // 000000007988: 7FCE0BE7
	v_mul_f32_e32 v228, v25, v228                              // 00000000798C: 0BC9C919
	v_mul_f32_e32 v229, v25, v229                              // 000000007990: 0BCBCB19
	v_mul_f32_e32 v230, v25, v230                              // 000000007994: 0BCDCD19
	v_mul_f32_e32 v231, v25, v231                              // 000000007998: 0BCFCF19
	v_mul_f32_dpp v228, v13, v228 row_newbcast:4 row_mask:0xf bank_mask:0xf// 00000000799C: 0BC9C8FA FF01540D
	v_mul_f32_dpp v229, v13, v229 row_newbcast:5 row_mask:0xf bank_mask:0xf// 0000000079A4: 0BCBCAFA FF01550D
	v_mul_f32_dpp v230, v13, v230 row_newbcast:6 row_mask:0xf bank_mask:0xf// 0000000079AC: 0BCDCCFA FF01560D
	v_mul_f32_dpp v231, v13, v231 row_newbcast:7 row_mask:0xf bank_mask:0xf// 0000000079B4: 0BCFCEFA FF01570D
	v_mul_f32_e32 v228, v21, v228                              // 0000000079BC: 0BC9C915
	v_mul_f32_e32 v229, v21, v229                              // 0000000079C0: 0BCBCB15
	v_mul_f32_e32 v230, v21, v230                              // 0000000079C4: 0BCDCD15
	v_mul_f32_e32 v231, v21, v231                              // 0000000079C8: 0BCFCF15
	v_cvt_f32_i32_e32 v232, v232                               // 0000000079CC: 7FD00BE8
	v_cvt_f32_i32_e32 v233, v233                               // 0000000079D0: 7FD20BE9
	v_cvt_f32_i32_e32 v234, v234                               // 0000000079D4: 7FD40BEA
	v_cvt_f32_i32_e32 v235, v235                               // 0000000079D8: 7FD60BEB
	v_mul_f32_e32 v232, v24, v232                              // 0000000079DC: 0BD1D118
	v_mul_f32_e32 v233, v24, v233                              // 0000000079E0: 0BD3D318
	v_mul_f32_e32 v234, v24, v234                              // 0000000079E4: 0BD5D518
	v_mul_f32_e32 v235, v24, v235                              // 0000000079E8: 0BD7D718
	v_mul_f32_dpp v232, v13, v232 row_newbcast:8 row_mask:0xf bank_mask:0xf// 0000000079EC: 0BD1D0FA FF01580D
	v_mul_f32_dpp v233, v13, v233 row_newbcast:9 row_mask:0xf bank_mask:0xf// 0000000079F4: 0BD3D2FA FF01590D
	v_mul_f32_dpp v234, v13, v234 row_newbcast:10 row_mask:0xf bank_mask:0xf// 0000000079FC: 0BD5D4FA FF015A0D
	v_mul_f32_dpp v235, v13, v235 row_newbcast:11 row_mask:0xf bank_mask:0xf// 000000007A04: 0BD7D6FA FF015B0D
	v_mul_f32_e32 v232, v20, v232                              // 000000007A0C: 0BD1D114
	v_mul_f32_e32 v233, v20, v233                              // 000000007A10: 0BD3D314
	v_mul_f32_e32 v234, v20, v234                              // 000000007A14: 0BD5D514
	v_mul_f32_e32 v235, v20, v235                              // 000000007A18: 0BD7D714
	v_cvt_f32_i32_e32 v236, v236                               // 000000007A1C: 7FD80BEC
	v_cvt_f32_i32_e32 v237, v237                               // 000000007A20: 7FDA0BED
	v_cvt_f32_i32_e32 v238, v238                               // 000000007A24: 7FDC0BEE
	v_cvt_f32_i32_e32 v239, v239                               // 000000007A28: 7FDE0BEF
	v_mul_f32_e32 v236, v25, v236                              // 000000007A2C: 0BD9D919
	v_mul_f32_e32 v237, v25, v237                              // 000000007A30: 0BDBDB19
	v_mul_f32_e32 v238, v25, v238                              // 000000007A34: 0BDDDD19
	v_mul_f32_e32 v239, v25, v239                              // 000000007A38: 0BDFDF19
	v_mul_f32_dpp v236, v13, v236 row_newbcast:8 row_mask:0xf bank_mask:0xf// 000000007A3C: 0BD9D8FA FF01580D
	v_mul_f32_dpp v237, v13, v237 row_newbcast:9 row_mask:0xf bank_mask:0xf// 000000007A44: 0BDBDAFA FF01590D
	v_mul_f32_dpp v238, v13, v238 row_newbcast:10 row_mask:0xf bank_mask:0xf// 000000007A4C: 0BDDDCFA FF015A0D
	v_mul_f32_dpp v239, v13, v239 row_newbcast:11 row_mask:0xf bank_mask:0xf// 000000007A54: 0BDFDEFA FF015B0D
	v_mul_f32_e32 v236, v21, v236                              // 000000007A5C: 0BD9D915
	v_mul_f32_e32 v237, v21, v237                              // 000000007A60: 0BDBDB15
	v_mul_f32_e32 v238, v21, v238                              // 000000007A64: 0BDDDD15
	v_mul_f32_e32 v239, v21, v239                              // 000000007A68: 0BDFDF15
	v_cvt_f32_i32_e32 v240, v240                               // 000000007A6C: 7FE00BF0
	v_cvt_f32_i32_e32 v241, v241                               // 000000007A70: 7FE20BF1
	v_cvt_f32_i32_e32 v242, v242                               // 000000007A74: 7FE40BF2
	v_cvt_f32_i32_e32 v243, v243                               // 000000007A78: 7FE60BF3
	v_mul_f32_e32 v240, v24, v240                              // 000000007A7C: 0BE1E118
	v_mul_f32_e32 v241, v24, v241                              // 000000007A80: 0BE3E318
	v_mul_f32_e32 v242, v24, v242                              // 000000007A84: 0BE5E518
	v_mul_f32_e32 v243, v24, v243                              // 000000007A88: 0BE7E718
	v_mul_f32_dpp v240, v13, v240 row_newbcast:12 row_mask:0xf bank_mask:0xf// 000000007A8C: 0BE1E0FA FF015C0D
	v_mul_f32_dpp v241, v13, v241 row_newbcast:13 row_mask:0xf bank_mask:0xf// 000000007A94: 0BE3E2FA FF015D0D
	v_mul_f32_dpp v242, v13, v242 row_newbcast:14 row_mask:0xf bank_mask:0xf// 000000007A9C: 0BE5E4FA FF015E0D
	v_mul_f32_dpp v243, v13, v243 row_newbcast:15 row_mask:0xf bank_mask:0xf// 000000007AA4: 0BE7E6FA FF015F0D
	v_mul_f32_e32 v240, v20, v240                              // 000000007AAC: 0BE1E114
	v_mul_f32_e32 v241, v20, v241                              // 000000007AB0: 0BE3E314
	v_mul_f32_e32 v242, v20, v242                              // 000000007AB4: 0BE5E514
	v_mul_f32_e32 v243, v20, v243                              // 000000007AB8: 0BE7E714
	v_cvt_f32_i32_e32 v244, v244                               // 000000007ABC: 7FE80BF4
	v_cvt_f32_i32_e32 v245, v245                               // 000000007AC0: 7FEA0BF5
	v_cvt_f32_i32_e32 v246, v246                               // 000000007AC4: 7FEC0BF6
	v_cvt_f32_i32_e32 v247, v247                               // 000000007AC8: 7FEE0BF7
	v_mul_f32_e32 v244, v25, v244                              // 000000007ACC: 0BE9E919
	v_mul_f32_e32 v245, v25, v245                              // 000000007AD0: 0BEBEB19
	v_mul_f32_e32 v246, v25, v246                              // 000000007AD4: 0BEDED19
	v_mul_f32_e32 v247, v25, v247                              // 000000007AD8: 0BEFEF19
	v_mul_f32_dpp v244, v13, v244 row_newbcast:12 row_mask:0xf bank_mask:0xf// 000000007ADC: 0BE9E8FA FF015C0D
	v_mul_f32_dpp v245, v13, v245 row_newbcast:13 row_mask:0xf bank_mask:0xf// 000000007AE4: 0BEBEAFA FF015D0D
	v_mul_f32_dpp v246, v13, v246 row_newbcast:14 row_mask:0xf bank_mask:0xf// 000000007AEC: 0BEDECFA FF015E0D
	v_mul_f32_dpp v247, v13, v247 row_newbcast:15 row_mask:0xf bank_mask:0xf// 000000007AF4: 0BEFEEFA FF015F0D
	v_mul_f32_e32 v244, v21, v244                              // 000000007AFC: 0BE9E915
	v_mul_f32_e32 v245, v21, v245                              // 000000007B00: 0BEBEB15
	v_mul_f32_e32 v246, v21, v246                              // 000000007B04: 0BEDED15
	v_mul_f32_e32 v247, v21, v247                              // 000000007B08: 0BEFEF15
	v_cmp_u_f32_e64 s[48:49], v216, v216                       // 000000007B0C: D0480030 0003B1D8
	v_add3_u32 v45, v216, v48, 1                               // 000000007B14: D1FF002D 020661D8
	v_cndmask_b32_e64 v52, v45, v47, s[48:49]                  // 000000007B1C: D1000034 00C25F2D
	v_cmp_u_f32_e64 s[48:49], v217, v217                       // 000000007B24: D0480030 0003B3D9
	v_add3_u32 v45, v217, v48, 1                               // 000000007B2C: D1FF002D 020661D9
	v_cndmask_b32_e64 v53, v45, v47, s[48:49]                  // 000000007B34: D1000035 00C25F2D
	v_perm_b32 v216, v53, v52, s52                             // 000000007B3C: D1ED00D8 00D26935
	v_cmp_u_f32_e64 s[48:49], v218, v218                       // 000000007B44: D0480030 0003B5DA
	v_add3_u32 v45, v218, v48, 1                               // 000000007B4C: D1FF002D 020661DA
	v_cndmask_b32_e64 v52, v45, v47, s[48:49]                  // 000000007B54: D1000034 00C25F2D
	v_cmp_u_f32_e64 s[48:49], v219, v219                       // 000000007B5C: D0480030 0003B7DB
	v_add3_u32 v45, v219, v48, 1                               // 000000007B64: D1FF002D 020661DB
	v_cndmask_b32_e64 v53, v45, v47, s[48:49]                  // 000000007B6C: D1000035 00C25F2D
	v_perm_b32 v217, v53, v52, s52                             // 000000007B74: D1ED00D9 00D26935
	v_cmp_u_f32_e64 s[48:49], v220, v220                       // 000000007B7C: D0480030 0003B9DC
	v_add3_u32 v45, v220, v48, 1                               // 000000007B84: D1FF002D 020661DC
	v_cndmask_b32_e64 v52, v45, v47, s[48:49]                  // 000000007B8C: D1000034 00C25F2D
	v_cmp_u_f32_e64 s[48:49], v221, v221                       // 000000007B94: D0480030 0003BBDD
	v_add3_u32 v45, v221, v48, 1                               // 000000007B9C: D1FF002D 020661DD
	v_cndmask_b32_e64 v53, v45, v47, s[48:49]                  // 000000007BA4: D1000035 00C25F2D
	v_perm_b32 v218, v53, v52, s52                             // 000000007BAC: D1ED00DA 00D26935
	v_cmp_u_f32_e64 s[48:49], v222, v222                       // 000000007BB4: D0480030 0003BDDE
	v_add3_u32 v45, v222, v48, 1                               // 000000007BBC: D1FF002D 020661DE
	v_cndmask_b32_e64 v52, v45, v47, s[48:49]                  // 000000007BC4: D1000034 00C25F2D
	v_cmp_u_f32_e64 s[48:49], v223, v223                       // 000000007BCC: D0480030 0003BFDF
	v_add3_u32 v45, v223, v48, 1                               // 000000007BD4: D1FF002D 020661DF
	v_cndmask_b32_e64 v53, v45, v47, s[48:49]                  // 000000007BDC: D1000035 00C25F2D
	v_perm_b32 v219, v53, v52, s52                             // 000000007BE4: D1ED00DB 00D26935
	v_cmp_u_f32_e64 s[48:49], v224, v224                       // 000000007BEC: D0480030 0003C1E0
	v_add3_u32 v45, v224, v48, 1                               // 000000007BF4: D1FF002D 020661E0
	v_cndmask_b32_e64 v52, v45, v47, s[48:49]                  // 000000007BFC: D1000034 00C25F2D
	v_cmp_u_f32_e64 s[48:49], v225, v225                       // 000000007C04: D0480030 0003C3E1
	v_add3_u32 v45, v225, v48, 1                               // 000000007C0C: D1FF002D 020661E1
	v_cndmask_b32_e64 v53, v45, v47, s[48:49]                  // 000000007C14: D1000035 00C25F2D
	v_perm_b32 v220, v53, v52, s52                             // 000000007C1C: D1ED00DC 00D26935
	v_cmp_u_f32_e64 s[48:49], v226, v226                       // 000000007C24: D0480030 0003C5E2
	v_add3_u32 v45, v226, v48, 1                               // 000000007C2C: D1FF002D 020661E2
	v_cndmask_b32_e64 v52, v45, v47, s[48:49]                  // 000000007C34: D1000034 00C25F2D
	v_cmp_u_f32_e64 s[48:49], v227, v227                       // 000000007C3C: D0480030 0003C7E3
	v_add3_u32 v45, v227, v48, 1                               // 000000007C44: D1FF002D 020661E3
	v_cndmask_b32_e64 v53, v45, v47, s[48:49]                  // 000000007C4C: D1000035 00C25F2D
	v_perm_b32 v221, v53, v52, s52                             // 000000007C54: D1ED00DD 00D26935
	v_cmp_u_f32_e64 s[48:49], v228, v228                       // 000000007C5C: D0480030 0003C9E4
	v_add3_u32 v45, v228, v48, 1                               // 000000007C64: D1FF002D 020661E4
	v_cndmask_b32_e64 v52, v45, v47, s[48:49]                  // 000000007C6C: D1000034 00C25F2D
	v_cmp_u_f32_e64 s[48:49], v229, v229                       // 000000007C74: D0480030 0003CBE5
	v_add3_u32 v45, v229, v48, 1                               // 000000007C7C: D1FF002D 020661E5
	v_cndmask_b32_e64 v53, v45, v47, s[48:49]                  // 000000007C84: D1000035 00C25F2D
	v_perm_b32 v222, v53, v52, s52                             // 000000007C8C: D1ED00DE 00D26935
	v_cmp_u_f32_e64 s[48:49], v230, v230                       // 000000007C94: D0480030 0003CDE6
	v_add3_u32 v45, v230, v48, 1                               // 000000007C9C: D1FF002D 020661E6
	v_cndmask_b32_e64 v52, v45, v47, s[48:49]                  // 000000007CA4: D1000034 00C25F2D
	v_cmp_u_f32_e64 s[48:49], v231, v231                       // 000000007CAC: D0480030 0003CFE7
	v_add3_u32 v45, v231, v48, 1                               // 000000007CB4: D1FF002D 020661E7
	v_cndmask_b32_e64 v53, v45, v47, s[48:49]                  // 000000007CBC: D1000035 00C25F2D
	v_perm_b32 v223, v53, v52, s52                             // 000000007CC4: D1ED00DF 00D26935
	v_cmp_u_f32_e64 s[48:49], v232, v232                       // 000000007CCC: D0480030 0003D1E8
	v_add3_u32 v45, v232, v48, 1                               // 000000007CD4: D1FF002D 020661E8
	v_cndmask_b32_e64 v52, v45, v47, s[48:49]                  // 000000007CDC: D1000034 00C25F2D
	v_cmp_u_f32_e64 s[48:49], v233, v233                       // 000000007CE4: D0480030 0003D3E9
	v_add3_u32 v45, v233, v48, 1                               // 000000007CEC: D1FF002D 020661E9
	v_cndmask_b32_e64 v53, v45, v47, s[48:49]                  // 000000007CF4: D1000035 00C25F2D
	v_perm_b32 v224, v53, v52, s52                             // 000000007CFC: D1ED00E0 00D26935
	v_cmp_u_f32_e64 s[48:49], v234, v234                       // 000000007D04: D0480030 0003D5EA
	v_add3_u32 v45, v234, v48, 1                               // 000000007D0C: D1FF002D 020661EA
	v_cndmask_b32_e64 v52, v45, v47, s[48:49]                  // 000000007D14: D1000034 00C25F2D
	v_cmp_u_f32_e64 s[48:49], v235, v235                       // 000000007D1C: D0480030 0003D7EB
	v_add3_u32 v45, v235, v48, 1                               // 000000007D24: D1FF002D 020661EB
	v_cndmask_b32_e64 v53, v45, v47, s[48:49]                  // 000000007D2C: D1000035 00C25F2D
	v_perm_b32 v225, v53, v52, s52                             // 000000007D34: D1ED00E1 00D26935
	v_cmp_u_f32_e64 s[48:49], v236, v236                       // 000000007D3C: D0480030 0003D9EC
	v_add3_u32 v45, v236, v48, 1                               // 000000007D44: D1FF002D 020661EC
	v_cndmask_b32_e64 v52, v45, v47, s[48:49]                  // 000000007D4C: D1000034 00C25F2D
	v_cmp_u_f32_e64 s[48:49], v237, v237                       // 000000007D54: D0480030 0003DBED
	v_add3_u32 v45, v237, v48, 1                               // 000000007D5C: D1FF002D 020661ED
	v_cndmask_b32_e64 v53, v45, v47, s[48:49]                  // 000000007D64: D1000035 00C25F2D
	v_perm_b32 v226, v53, v52, s52                             // 000000007D6C: D1ED00E2 00D26935
	v_cmp_u_f32_e64 s[48:49], v238, v238                       // 000000007D74: D0480030 0003DDEE
	v_add3_u32 v45, v238, v48, 1                               // 000000007D7C: D1FF002D 020661EE
	v_cndmask_b32_e64 v52, v45, v47, s[48:49]                  // 000000007D84: D1000034 00C25F2D
	v_cmp_u_f32_e64 s[48:49], v239, v239                       // 000000007D8C: D0480030 0003DFEF
	v_add3_u32 v45, v239, v48, 1                               // 000000007D94: D1FF002D 020661EF
	v_cndmask_b32_e64 v53, v45, v47, s[48:49]                  // 000000007D9C: D1000035 00C25F2D
	v_perm_b32 v227, v53, v52, s52                             // 000000007DA4: D1ED00E3 00D26935
	v_cmp_u_f32_e64 s[48:49], v240, v240                       // 000000007DAC: D0480030 0003E1F0
	v_add3_u32 v45, v240, v48, 1                               // 000000007DB4: D1FF002D 020661F0
	v_cndmask_b32_e64 v52, v45, v47, s[48:49]                  // 000000007DBC: D1000034 00C25F2D
	v_cmp_u_f32_e64 s[48:49], v241, v241                       // 000000007DC4: D0480030 0003E3F1
	v_add3_u32 v45, v241, v48, 1                               // 000000007DCC: D1FF002D 020661F1
	v_cndmask_b32_e64 v53, v45, v47, s[48:49]                  // 000000007DD4: D1000035 00C25F2D
	v_perm_b32 v228, v53, v52, s52                             // 000000007DDC: D1ED00E4 00D26935
	v_cmp_u_f32_e64 s[48:49], v242, v242                       // 000000007DE4: D0480030 0003E5F2
	v_add3_u32 v45, v242, v48, 1                               // 000000007DEC: D1FF002D 020661F2
	v_cndmask_b32_e64 v52, v45, v47, s[48:49]                  // 000000007DF4: D1000034 00C25F2D
	v_cmp_u_f32_e64 s[48:49], v243, v243                       // 000000007DFC: D0480030 0003E7F3
	v_add3_u32 v45, v243, v48, 1                               // 000000007E04: D1FF002D 020661F3
	v_cndmask_b32_e64 v53, v45, v47, s[48:49]                  // 000000007E0C: D1000035 00C25F2D
	v_perm_b32 v229, v53, v52, s52                             // 000000007E14: D1ED00E5 00D26935
	v_cmp_u_f32_e64 s[48:49], v244, v244                       // 000000007E1C: D0480030 0003E9F4
	v_add3_u32 v45, v244, v48, 1                               // 000000007E24: D1FF002D 020661F4
	v_cndmask_b32_e64 v52, v45, v47, s[48:49]                  // 000000007E2C: D1000034 00C25F2D
	v_cmp_u_f32_e64 s[48:49], v245, v245                       // 000000007E34: D0480030 0003EBF5
	v_add3_u32 v45, v245, v48, 1                               // 000000007E3C: D1FF002D 020661F5
	v_cndmask_b32_e64 v53, v45, v47, s[48:49]                  // 000000007E44: D1000035 00C25F2D
	v_perm_b32 v230, v53, v52, s52                             // 000000007E4C: D1ED00E6 00D26935
	v_cmp_u_f32_e64 s[48:49], v246, v246                       // 000000007E54: D0480030 0003EDF6
	v_add3_u32 v45, v246, v48, 1                               // 000000007E5C: D1FF002D 020661F6
	v_cndmask_b32_e64 v52, v45, v47, s[48:49]                  // 000000007E64: D1000034 00C25F2D
	v_cmp_u_f32_e64 s[48:49], v247, v247                       // 000000007E6C: D0480030 0003EFF7
	v_add3_u32 v45, v247, v48, 1                               // 000000007E74: D1FF002D 020661F7
	v_cndmask_b32_e64 v53, v45, v47, s[48:49]                  // 000000007E7C: D1000035 00C25F2D
	v_perm_b32 v231, v53, v52, s52                             // 000000007E84: D1ED00E7 00D26935
	ds_write_b64 v3, v[216:217] offset:33024                   // 000000007E8C: D89A8100 0000D803
	ds_write_b64 v3, v[218:219] offset:41728                   // 000000007E94: D89AA300 0000DA03
	ds_write_b64 v3, v[220:221] offset:35200                   // 000000007E9C: D89A8980 0000DC03
	ds_write_b64 v3, v[222:223] offset:43904                   // 000000007EA4: D89AAB80 0000DE03
	ds_write_b64 v3, v[224:225] offset:37376                   // 000000007EAC: D89A9200 0000E003
	ds_write_b64 v3, v[226:227] offset:46080                   // 000000007EB4: D89AB400 0000E203
	ds_write_b64 v3, v[228:229] offset:39552                   // 000000007EBC: D89A9A80 0000E403
	ds_write_b64 v3, v[230:231] offset:48256                   // 000000007EC4: D89ABC80 0000E603
	s_waitcnt lgkmcnt(0)                                       // 000000007ECC: BF8CC07F
	s_barrier                                                  // 000000007ED0: BF8A0000
	ds_read_b32 v64, v4 offset:33024                           // 000000007ED4: D86C8100 40000004
	ds_read_b32 v65, v4 offset:37376                           // 000000007EDC: D86C9200 41000004
	ds_read_b32 v66, v4 offset:33056                           // 000000007EE4: D86C8120 42000004
	ds_read_b32 v67, v4 offset:37408                           // 000000007EEC: D86C9220 43000004
	ds_read_b32 v68, v4 offset:33088                           // 000000007EF4: D86C8140 44000004
	ds_read_b32 v69, v4 offset:37440                           // 000000007EFC: D86C9240 45000004
	ds_read_b32 v70, v4 offset:33120                           // 000000007F04: D86C8160 46000004
	ds_read_b32 v71, v4 offset:37472                           // 000000007F0C: D86C9260 47000004
	ds_read_b32 v72, v4 offset:41728                           // 000000007F14: D86CA300 48000004
	ds_read_b32 v73, v4 offset:46080                           // 000000007F1C: D86CB400 49000004
	ds_read_b32 v74, v4 offset:41760                           // 000000007F24: D86CA320 4A000004
	ds_read_b32 v75, v4 offset:46112                           // 000000007F2C: D86CB420 4B000004
	ds_read_b32 v76, v4 offset:41792                           // 000000007F34: D86CA340 4C000004
	ds_read_b32 v77, v4 offset:46144                           // 000000007F3C: D86CB440 4D000004
	ds_read_b32 v78, v4 offset:41824                           // 000000007F44: D86CA360 4E000004
	ds_read_b32 v79, v4 offset:46176                           // 000000007F4C: D86CB460 4F000004
	s_waitcnt lgkmcnt(0)                                       // 000000007F54: BF8CC07F
	s_mov_b64 exec, s[20:21]                                   // 000000007F58: BEFE0114
	global_atomic_pk_add_bf16 v80, v64, s[8:9]                 // 000000007F5C: DD488000 00084050
	s_mov_b64 exec, s[36:37]                                   // 000000007F64: BEFE0124
	s_mov_b64 exec, s[20:21]                                   // 000000007F68: BEFE0114
	global_atomic_pk_add_bf16 v80, v65, s[8:9] offset:256      // 000000007F6C: DD488100 00084150
	s_mov_b64 exec, s[36:37]                                   // 000000007F74: BEFE0124
	s_mov_b64 exec, s[22:23]                                   // 000000007F78: BEFE0116
	global_atomic_pk_add_bf16 v82, v66, s[8:9]                 // 000000007F7C: DD488000 00084252
	s_mov_b64 exec, s[36:37]                                   // 000000007F84: BEFE0124
	s_mov_b64 exec, s[22:23]                                   // 000000007F88: BEFE0116
	global_atomic_pk_add_bf16 v82, v67, s[8:9] offset:256      // 000000007F8C: DD488100 00084352
	s_mov_b64 exec, s[36:37]                                   // 000000007F94: BEFE0124
	s_mov_b64 exec, s[24:25]                                   // 000000007F98: BEFE0118
	global_atomic_pk_add_bf16 v84, v68, s[8:9]                 // 000000007F9C: DD488000 00084454
	s_mov_b64 exec, s[36:37]                                   // 000000007FA4: BEFE0124
	s_mov_b64 exec, s[24:25]                                   // 000000007FA8: BEFE0118
	global_atomic_pk_add_bf16 v84, v69, s[8:9] offset:256      // 000000007FAC: DD488100 00084554
	s_mov_b64 exec, s[36:37]                                   // 000000007FB4: BEFE0124
	s_mov_b64 exec, s[26:27]                                   // 000000007FB8: BEFE011A
	global_atomic_pk_add_bf16 v86, v70, s[8:9]                 // 000000007FBC: DD488000 00084656
	s_mov_b64 exec, s[36:37]                                   // 000000007FC4: BEFE0124
	s_mov_b64 exec, s[26:27]                                   // 000000007FC8: BEFE011A
	global_atomic_pk_add_bf16 v86, v71, s[8:9] offset:256      // 000000007FCC: DD488100 00084756
	s_mov_b64 exec, s[36:37]                                   // 000000007FD4: BEFE0124
	s_mov_b64 exec, s[28:29]                                   // 000000007FD8: BEFE011C
	global_atomic_pk_add_bf16 v88, v72, s[8:9]                 // 000000007FDC: DD488000 00084858
	s_mov_b64 exec, s[36:37]                                   // 000000007FE4: BEFE0124
	s_mov_b64 exec, s[28:29]                                   // 000000007FE8: BEFE011C
	global_atomic_pk_add_bf16 v88, v73, s[8:9] offset:256      // 000000007FEC: DD488100 00084958
	s_mov_b64 exec, s[36:37]                                   // 000000007FF4: BEFE0124
	s_mov_b64 exec, s[30:31]                                   // 000000007FF8: BEFE011E
	global_atomic_pk_add_bf16 v90, v74, s[8:9]                 // 000000007FFC: DD488000 00084A5A
	s_mov_b64 exec, s[36:37]                                   // 000000008004: BEFE0124
	s_mov_b64 exec, s[30:31]                                   // 000000008008: BEFE011E
	global_atomic_pk_add_bf16 v90, v75, s[8:9] offset:256      // 00000000800C: DD488100 00084B5A
	s_mov_b64 exec, s[36:37]                                   // 000000008014: BEFE0124
	s_mov_b64 exec, s[32:33]                                   // 000000008018: BEFE0120
	global_atomic_pk_add_bf16 v92, v76, s[8:9]                 // 00000000801C: DD488000 00084C5C
	s_mov_b64 exec, s[36:37]                                   // 000000008024: BEFE0124
	s_mov_b64 exec, s[32:33]                                   // 000000008028: BEFE0120
	global_atomic_pk_add_bf16 v92, v77, s[8:9] offset:256      // 00000000802C: DD488100 00084D5C
	s_mov_b64 exec, s[36:37]                                   // 000000008034: BEFE0124
	s_mov_b64 exec, s[34:35]                                   // 000000008038: BEFE0122
	global_atomic_pk_add_bf16 v94, v78, s[8:9]                 // 00000000803C: DD488000 00084E5E
	s_mov_b64 exec, s[36:37]                                   // 000000008044: BEFE0124
	s_mov_b64 exec, s[34:35]                                   // 000000008048: BEFE0122
	global_atomic_pk_add_bf16 v94, v79, s[8:9] offset:256      // 00000000804C: DD488100 00084F5E
	s_mov_b64 exec, s[36:37]                                   // 000000008054: BEFE0124
	s_add_u32 s8, s59, s8                                      // 000000008058: 8008083B
	s_addc_u32 s9, 0, s9                                       // 00000000805C: 82090980
	s_addk_i32 s80, 0x100                                      // 000000008060: B7500100
	s_cmp_lt_i32 s80, s81                                      // 000000008064: BF045150
	s_cbranch_scc0 label_149C                                  // 000000008068: BF840001
	s_branch label_0E3B                                        // 00000000806C: BF82F99F

0000000000008070 <label_149C>:
	s_nop 0                                                    // 000000008070: BF800000
	s_nop 0                                                    // 000000008074: BF800000
	s_branch label_2630                                        // 000000008078: BF821191

000000000000807c <label_149F>:
	s_waitcnt vmcnt(20) lgkmcnt(0)                             // 00000000807C: BF8C4074
	s_barrier                                                  // 000000008080: BF8A0000
	v_mfma_i32_16x16x32_i8 v[128:131], a[0:1], v[184:185], v[128:131]// 000000008084: D3D70080 0E037100
	buffer_load_dwordx4 a[112:115], v34, s[92:95], 0 offen     // 00000000808C: E05C1000 80977022
	v_mfma_i32_16x16x32_i8 v[128:131], a[2:3], v[186:187], v[128:131]// 000000008094: D3D70080 0E037502
	v_mfma_i32_16x16x32_i8 v[128:131], a[4:5], v[188:189], v[128:131]// 00000000809C: D3D70080 0E037904
	buffer_load_dword v26, s[20:23], 0 offen lds               // 0000000080A4: E0511000 8005001A
	s_add_u32 m0, 0x100, s51                                   // 0000000080AC: 807C33FF 00000100
	v_mfma_i32_16x16x32_i8 v[128:131], a[6:7], v[190:191], v[128:131]// 0000000080B4: D3D70080 0E037D06
	v_mfma_i32_16x16x32_i8 v[128:131], a[8:9], v[192:193], v[128:131]// 0000000080BC: D3D70080 0E038108
	buffer_load_dwordx4 a[116:119], v34, s[92:95], 0 offen offset:1024// 0000000080C4: E05C1400 80977422
	v_mfma_i32_16x16x32_i8 v[128:131], a[10:11], v[194:195], v[128:131]// 0000000080CC: D3D70080 0E03850A
	v_mfma_i32_16x16x32_i8 v[128:131], a[12:13], v[196:197], v[128:131]// 0000000080D4: D3D70080 0E03890C
	buffer_load_dword v27, s[20:23], 0 offen lds               // 0000000080DC: E0511000 8005001B
	s_add_u32 m0, 0x200, s51                                   // 0000000080E4: 807C33FF 00000200
	v_mfma_i32_16x16x32_i8 v[128:131], a[14:15], v[198:199], v[128:131]// 0000000080EC: D3D70080 0E038D0E
	v_mfma_i32_16x16x32_i8 v[132:135], a[0:1], v[200:201], v[132:135]// 0000000080F4: D3D70084 0E139100
	buffer_load_dwordx4 a[120:123], v34, s[92:95], 0 offen offset:2048// 0000000080FC: E05C1800 80977822
	v_mfma_i32_16x16x32_i8 v[132:135], a[2:3], v[202:203], v[132:135]// 000000008104: D3D70084 0E139502
	v_mfma_i32_16x16x32_i8 v[132:135], a[4:5], v[204:205], v[132:135]// 00000000810C: D3D70084 0E139904
	buffer_load_dword v28, s[20:23], 0 offen lds               // 000000008114: E0511000 8005001C
	s_add_u32 m0, 0x300, s51                                   // 00000000811C: 807C33FF 00000300
	v_mfma_i32_16x16x32_i8 v[132:135], a[6:7], v[206:207], v[132:135]// 000000008124: D3D70084 0E139D06
	v_mfma_i32_16x16x32_i8 v[132:135], a[8:9], v[208:209], v[132:135]// 00000000812C: D3D70084 0E13A108
	buffer_load_dwordx4 a[124:127], v34, s[92:95], 0 offen offset:3072// 000000008134: E05C1C00 80977C22
	v_mfma_i32_16x16x32_i8 v[132:135], a[10:11], v[210:211], v[132:135]// 00000000813C: D3D70084 0E13A50A
	v_mfma_i32_16x16x32_i8 v[132:135], a[12:13], v[212:213], v[132:135]// 000000008144: D3D70084 0E13A90C
	buffer_load_dword v29, s[20:23], 0 offen lds               // 00000000814C: E0511000 8005001D
	s_add_u32 m0, 0x400, s51                                   // 000000008154: 807C33FF 00000400
	v_mfma_i32_16x16x32_i8 v[132:135], a[14:15], v[214:215], v[132:135]// 00000000815C: D3D70084 0E13AD0E
	v_mfma_i32_16x16x32_i8 v[136:139], a[16:17], v[184:185], v[136:139]// 000000008164: D3D70088 0E237110
	buffer_load_dwordx4 a[128:131], v35, s[92:95], 0 offen     // 00000000816C: E05C1000 80978023
	v_mfma_i32_16x16x32_i8 v[136:139], a[18:19], v[186:187], v[136:139]// 000000008174: D3D70088 0E237512
	v_mfma_i32_16x16x32_i8 v[136:139], a[20:21], v[188:189], v[136:139]// 00000000817C: D3D70088 0E237914
	buffer_load_dword v30, s[20:23], 0 offen lds               // 000000008184: E0511000 8005001E
	s_add_u32 m0, 0x500, s51                                   // 00000000818C: 807C33FF 00000500
	v_mfma_i32_16x16x32_i8 v[136:139], a[22:23], v[190:191], v[136:139]// 000000008194: D3D70088 0E237D16
	v_mfma_i32_16x16x32_i8 v[136:139], a[24:25], v[192:193], v[136:139]// 00000000819C: D3D70088 0E238118
	buffer_load_dwordx4 a[132:135], v35, s[92:95], 0 offen offset:1024// 0000000081A4: E05C1400 80978423
	v_mfma_i32_16x16x32_i8 v[136:139], a[26:27], v[194:195], v[136:139]// 0000000081AC: D3D70088 0E23851A
	v_mfma_i32_16x16x32_i8 v[136:139], a[28:29], v[196:197], v[136:139]// 0000000081B4: D3D70088 0E23891C
	buffer_load_dword v31, s[20:23], 0 offen lds               // 0000000081BC: E0511000 8005001F
	s_add_u32 m0, 0x600, s51                                   // 0000000081C4: 807C33FF 00000600
	v_mfma_i32_16x16x32_i8 v[136:139], a[30:31], v[198:199], v[136:139]// 0000000081CC: D3D70088 0E238D1E
	v_mfma_i32_16x16x32_i8 v[140:143], a[16:17], v[200:201], v[140:143]// 0000000081D4: D3D7008C 0E339110
	buffer_load_dwordx4 a[136:139], v35, s[92:95], 0 offen offset:2048// 0000000081DC: E05C1800 80978823
	v_mfma_i32_16x16x32_i8 v[140:143], a[18:19], v[202:203], v[140:143]// 0000000081E4: D3D7008C 0E339512
	v_mfma_i32_16x16x32_i8 v[140:143], a[20:21], v[204:205], v[140:143]// 0000000081EC: D3D7008C 0E339914
	buffer_load_dword v32, s[20:23], 0 offen lds               // 0000000081F4: E0511000 80050020
	s_add_u32 m0, 0x700, s51                                   // 0000000081FC: 807C33FF 00000700
	v_mfma_i32_16x16x32_i8 v[140:143], a[22:23], v[206:207], v[140:143]// 000000008204: D3D7008C 0E339D16
	v_mfma_i32_16x16x32_i8 v[140:143], a[24:25], v[208:209], v[140:143]// 00000000820C: D3D7008C 0E33A118
	buffer_load_dwordx4 a[140:143], v35, s[92:95], 0 offen offset:3072// 000000008214: E05C1C00 80978C23
	v_mfma_i32_16x16x32_i8 v[140:143], a[26:27], v[210:211], v[140:143]// 00000000821C: D3D7008C 0E33A51A
	v_mfma_i32_16x16x32_i8 v[140:143], a[28:29], v[212:213], v[140:143]// 000000008224: D3D7008C 0E33A91C
	buffer_load_dword v33, s[20:23], 0 offen lds               // 00000000822C: E0511000 80050021
	s_add_u32 m0, 0, s50                                       // 000000008234: 807C3280
	v_mfma_i32_16x16x32_i8 v[140:143], a[30:31], v[214:215], v[140:143]// 000000008238: D3D7008C 0E33AD1E
	s_waitcnt vmcnt(32)                                        // 000000008240: BF8C8F70
	v_mfma_i32_16x16x32_i8 v[144:147], a[32:33], v[184:185], v[144:147]// 000000008244: D3D70090 0E437120
	buffer_load_dwordx4 a[144:147], v36, s[92:95], 0 offen     // 00000000824C: E05C1000 80979024
	v_mfma_i32_16x16x32_i8 v[144:147], a[34:35], v[186:187], v[144:147]// 000000008254: D3D70090 0E437522
	v_mfma_i32_16x16x32_i8 v[144:147], a[36:37], v[188:189], v[144:147]// 00000000825C: D3D70090 0E437924
	v_mfma_i32_16x16x32_i8 v[144:147], a[38:39], v[190:191], v[144:147]// 000000008264: D3D70090 0E437D26
	v_mfma_i32_16x16x32_i8 v[144:147], a[40:41], v[192:193], v[144:147]// 00000000826C: D3D70090 0E438128
	buffer_load_dwordx4 a[148:151], v36, s[92:95], 0 offen offset:1024// 000000008274: E05C1400 80979424
	v_mfma_i32_16x16x32_i8 v[144:147], a[42:43], v[194:195], v[144:147]// 00000000827C: D3D70090 0E43852A
	v_mfma_i32_16x16x32_i8 v[144:147], a[44:45], v[196:197], v[144:147]// 000000008284: D3D70090 0E43892C
	v_mfma_i32_16x16x32_i8 v[144:147], a[46:47], v[198:199], v[144:147]// 00000000828C: D3D70090 0E438D2E
	v_mfma_i32_16x16x32_i8 v[148:151], a[32:33], v[200:201], v[148:151]// 000000008294: D3D70094 0E539120
	buffer_load_dwordx4 a[152:155], v36, s[92:95], 0 offen offset:2048// 00000000829C: E05C1800 80979824
	v_mfma_i32_16x16x32_i8 v[148:151], a[34:35], v[202:203], v[148:151]// 0000000082A4: D3D70094 0E539522
	v_mfma_i32_16x16x32_i8 v[148:151], a[36:37], v[204:205], v[148:151]// 0000000082AC: D3D70094 0E539924
	v_mfma_i32_16x16x32_i8 v[148:151], a[38:39], v[206:207], v[148:151]// 0000000082B4: D3D70094 0E539D26
	v_mfma_i32_16x16x32_i8 v[148:151], a[40:41], v[208:209], v[148:151]// 0000000082BC: D3D70094 0E53A128
	buffer_load_dwordx4 a[156:159], v36, s[92:95], 0 offen offset:3072// 0000000082C4: E05C1C00 80979C24
	v_mfma_i32_16x16x32_i8 v[148:151], a[42:43], v[210:211], v[148:151]// 0000000082CC: D3D70094 0E53A52A
	v_mfma_i32_16x16x32_i8 v[148:151], a[44:45], v[212:213], v[148:151]// 0000000082D4: D3D70094 0E53A92C
	v_mfma_i32_16x16x32_i8 v[148:151], a[46:47], v[214:215], v[148:151]// 0000000082DC: D3D70094 0E53AD2E
	s_waitcnt vmcnt(32)                                        // 0000000082E4: BF8C8F70
	v_mfma_i32_16x16x32_i8 v[152:155], a[48:49], v[184:185], v[152:155]// 0000000082E8: D3D70098 0E637130
	buffer_load_dwordx4 a[160:163], v37, s[92:95], 0 offen     // 0000000082F0: E05C1000 8097A025
	v_mfma_i32_16x16x32_i8 v[152:155], a[50:51], v[186:187], v[152:155]// 0000000082F8: D3D70098 0E637532
	v_mfma_i32_16x16x32_i8 v[152:155], a[52:53], v[188:189], v[152:155]// 000000008300: D3D70098 0E637934
	v_mfma_i32_16x16x32_i8 v[152:155], a[54:55], v[190:191], v[152:155]// 000000008308: D3D70098 0E637D36
	v_mfma_i32_16x16x32_i8 v[152:155], a[56:57], v[192:193], v[152:155]// 000000008310: D3D70098 0E638138
	buffer_load_dwordx4 a[164:167], v37, s[92:95], 0 offen offset:1024// 000000008318: E05C1400 8097A425
	v_mfma_i32_16x16x32_i8 v[152:155], a[58:59], v[194:195], v[152:155]// 000000008320: D3D70098 0E63853A
	v_mfma_i32_16x16x32_i8 v[152:155], a[60:61], v[196:197], v[152:155]// 000000008328: D3D70098 0E63893C
	v_mfma_i32_16x16x32_i8 v[152:155], a[62:63], v[198:199], v[152:155]// 000000008330: D3D70098 0E638D3E
	v_mfma_i32_16x16x32_i8 v[156:159], a[48:49], v[200:201], v[156:159]// 000000008338: D3D7009C 0E739130
	buffer_load_dwordx4 a[168:171], v37, s[92:95], 0 offen offset:2048// 000000008340: E05C1800 8097A825
	v_mfma_i32_16x16x32_i8 v[156:159], a[50:51], v[202:203], v[156:159]// 000000008348: D3D7009C 0E739532
	v_mfma_i32_16x16x32_i8 v[156:159], a[52:53], v[204:205], v[156:159]// 000000008350: D3D7009C 0E739934
	v_mfma_i32_16x16x32_i8 v[156:159], a[54:55], v[206:207], v[156:159]// 000000008358: D3D7009C 0E739D36
	v_mfma_i32_16x16x32_i8 v[156:159], a[56:57], v[208:209], v[156:159]// 000000008360: D3D7009C 0E73A138
	buffer_load_dwordx4 a[172:175], v37, s[92:95], 0 offen offset:3072// 000000008368: E05C1C00 8097AC25
	v_mfma_i32_16x16x32_i8 v[156:159], a[58:59], v[210:211], v[156:159]// 000000008370: D3D7009C 0E73A53A
	v_mfma_i32_16x16x32_i8 v[156:159], a[60:61], v[212:213], v[156:159]// 000000008378: D3D7009C 0E73A93C
	v_mfma_i32_16x16x32_i8 v[156:159], a[62:63], v[214:215], v[156:159]// 000000008380: D3D7009C 0E73AD3E
	s_waitcnt vmcnt(32)                                        // 000000008388: BF8C8F70
	v_mfma_i32_16x16x32_i8 v[160:163], a[64:65], v[184:185], v[160:163]// 00000000838C: D3D700A0 0E837140
	buffer_load_dwordx4 a[176:179], v38, s[92:95], 0 offen     // 000000008394: E05C1000 8097B026
	v_mfma_i32_16x16x32_i8 v[160:163], a[66:67], v[186:187], v[160:163]// 00000000839C: D3D700A0 0E837542
	v_mfma_i32_16x16x32_i8 v[160:163], a[68:69], v[188:189], v[160:163]// 0000000083A4: D3D700A0 0E837944
	v_mfma_i32_16x16x32_i8 v[160:163], a[70:71], v[190:191], v[160:163]// 0000000083AC: D3D700A0 0E837D46
	v_mfma_i32_16x16x32_i8 v[160:163], a[72:73], v[192:193], v[160:163]// 0000000083B4: D3D700A0 0E838148
	buffer_load_dwordx4 a[180:183], v38, s[92:95], 0 offen offset:1024// 0000000083BC: E05C1400 8097B426
	v_mfma_i32_16x16x32_i8 v[160:163], a[74:75], v[194:195], v[160:163]// 0000000083C4: D3D700A0 0E83854A
	v_mfma_i32_16x16x32_i8 v[160:163], a[76:77], v[196:197], v[160:163]// 0000000083CC: D3D700A0 0E83894C
	v_mfma_i32_16x16x32_i8 v[160:163], a[78:79], v[198:199], v[160:163]// 0000000083D4: D3D700A0 0E838D4E
	v_mfma_i32_16x16x32_i8 v[164:167], a[64:65], v[200:201], v[164:167]// 0000000083DC: D3D700A4 0E939140
	buffer_load_dwordx4 a[184:187], v38, s[92:95], 0 offen offset:2048// 0000000083E4: E05C1800 8097B826
	v_mfma_i32_16x16x32_i8 v[164:167], a[66:67], v[202:203], v[164:167]// 0000000083EC: D3D700A4 0E939542
	v_mfma_i32_16x16x32_i8 v[164:167], a[68:69], v[204:205], v[164:167]// 0000000083F4: D3D700A4 0E939944
	v_mfma_i32_16x16x32_i8 v[164:167], a[70:71], v[206:207], v[164:167]// 0000000083FC: D3D700A4 0E939D46
	v_mfma_i32_16x16x32_i8 v[164:167], a[72:73], v[208:209], v[164:167]// 000000008404: D3D700A4 0E93A148
	buffer_load_dwordx4 a[188:191], v38, s[92:95], 0 offen offset:3072// 00000000840C: E05C1C00 8097BC26
	v_mfma_i32_16x16x32_i8 v[164:167], a[74:75], v[210:211], v[164:167]// 000000008414: D3D700A4 0E93A54A
	v_mfma_i32_16x16x32_i8 v[164:167], a[76:77], v[212:213], v[164:167]// 00000000841C: D3D700A4 0E93A94C
	v_mfma_i32_16x16x32_i8 v[164:167], a[78:79], v[214:215], v[164:167]// 000000008424: D3D700A4 0E93AD4E
	s_waitcnt vmcnt(32)                                        // 00000000842C: BF8C8F70
	v_mfma_i32_16x16x32_i8 v[168:171], a[80:81], v[184:185], v[168:171]// 000000008430: D3D700A8 0EA37150
	buffer_load_dwordx4 a[192:195], v39, s[92:95], 0 offen     // 000000008438: E05C1000 8097C027
	v_mfma_i32_16x16x32_i8 v[168:171], a[82:83], v[186:187], v[168:171]// 000000008440: D3D700A8 0EA37552
	v_mfma_i32_16x16x32_i8 v[168:171], a[84:85], v[188:189], v[168:171]// 000000008448: D3D700A8 0EA37954
	v_mfma_i32_16x16x32_i8 v[168:171], a[86:87], v[190:191], v[168:171]// 000000008450: D3D700A8 0EA37D56
	v_mfma_i32_16x16x32_i8 v[168:171], a[88:89], v[192:193], v[168:171]// 000000008458: D3D700A8 0EA38158
	buffer_load_dwordx4 a[196:199], v39, s[92:95], 0 offen offset:1024// 000000008460: E05C1400 8097C427
	v_mfma_i32_16x16x32_i8 v[168:171], a[90:91], v[194:195], v[168:171]// 000000008468: D3D700A8 0EA3855A
	v_mfma_i32_16x16x32_i8 v[168:171], a[92:93], v[196:197], v[168:171]// 000000008470: D3D700A8 0EA3895C
	v_mfma_i32_16x16x32_i8 v[168:171], a[94:95], v[198:199], v[168:171]// 000000008478: D3D700A8 0EA38D5E
	v_mfma_i32_16x16x32_i8 v[172:175], a[80:81], v[200:201], v[172:175]// 000000008480: D3D700AC 0EB39150
	buffer_load_dwordx4 a[200:203], v39, s[92:95], 0 offen offset:2048// 000000008488: E05C1800 8097C827
	v_mfma_i32_16x16x32_i8 v[172:175], a[82:83], v[202:203], v[172:175]// 000000008490: D3D700AC 0EB39552
	v_mfma_i32_16x16x32_i8 v[172:175], a[84:85], v[204:205], v[172:175]// 000000008498: D3D700AC 0EB39954
	v_mfma_i32_16x16x32_i8 v[172:175], a[86:87], v[206:207], v[172:175]// 0000000084A0: D3D700AC 0EB39D56
	v_mfma_i32_16x16x32_i8 v[172:175], a[88:89], v[208:209], v[172:175]// 0000000084A8: D3D700AC 0EB3A158
	buffer_load_dwordx4 a[204:207], v39, s[92:95], 0 offen offset:3072// 0000000084B0: E05C1C00 8097CC27
	v_mfma_i32_16x16x32_i8 v[172:175], a[90:91], v[210:211], v[172:175]// 0000000084B8: D3D700AC 0EB3A55A
	v_mfma_i32_16x16x32_i8 v[172:175], a[92:93], v[212:213], v[172:175]// 0000000084C0: D3D700AC 0EB3A95C
	v_mfma_i32_16x16x32_i8 v[172:175], a[94:95], v[214:215], v[172:175]// 0000000084C8: D3D700AC 0EB3AD5E
	s_waitcnt vmcnt(32)                                        // 0000000084D0: BF8C8F70
	v_mfma_i32_16x16x32_i8 v[176:179], a[96:97], v[184:185], v[176:179]// 0000000084D4: D3D700B0 0EC37160
	buffer_load_dwordx4 a[208:211], v40, s[92:95], 0 offen     // 0000000084DC: E05C1000 8097D028
	v_mfma_i32_16x16x32_i8 v[176:179], a[98:99], v[186:187], v[176:179]// 0000000084E4: D3D700B0 0EC37562
	v_mfma_i32_16x16x32_i8 v[176:179], a[100:101], v[188:189], v[176:179]// 0000000084EC: D3D700B0 0EC37964
	v_mfma_i32_16x16x32_i8 v[176:179], a[102:103], v[190:191], v[176:179]// 0000000084F4: D3D700B0 0EC37D66
	v_mfma_i32_16x16x32_i8 v[176:179], a[104:105], v[192:193], v[176:179]// 0000000084FC: D3D700B0 0EC38168
	buffer_load_dwordx4 a[212:215], v40, s[92:95], 0 offen offset:1024// 000000008504: E05C1400 8097D428
	v_mfma_i32_16x16x32_i8 v[176:179], a[106:107], v[194:195], v[176:179]// 00000000850C: D3D700B0 0EC3856A
	v_mfma_i32_16x16x32_i8 v[176:179], a[108:109], v[196:197], v[176:179]// 000000008514: D3D700B0 0EC3896C
	v_mfma_i32_16x16x32_i8 v[176:179], a[110:111], v[198:199], v[176:179]// 00000000851C: D3D700B0 0EC38D6E
	v_mfma_i32_16x16x32_i8 v[180:183], a[96:97], v[200:201], v[180:183]// 000000008524: D3D700B4 0ED39160
	buffer_load_dwordx4 a[216:219], v40, s[92:95], 0 offen offset:2048// 00000000852C: E05C1800 8097D828
	v_mfma_i32_16x16x32_i8 v[180:183], a[98:99], v[202:203], v[180:183]// 000000008534: D3D700B4 0ED39562
	v_mfma_i32_16x16x32_i8 v[180:183], a[100:101], v[204:205], v[180:183]// 00000000853C: D3D700B4 0ED39964
	v_mfma_i32_16x16x32_i8 v[180:183], a[102:103], v[206:207], v[180:183]// 000000008544: D3D700B4 0ED39D66
	v_mfma_i32_16x16x32_i8 v[180:183], a[104:105], v[208:209], v[180:183]// 00000000854C: D3D700B4 0ED3A168
	buffer_load_dwordx4 a[220:223], v40, s[92:95], 0 offen offset:3072// 000000008554: E05C1C00 8097DC28
	v_mfma_i32_16x16x32_i8 v[180:183], a[106:107], v[210:211], v[180:183]// 00000000855C: D3D700B4 0ED3A56A
	v_mfma_i32_16x16x32_i8 v[180:183], a[108:109], v[212:213], v[180:183]// 000000008564: D3D700B4 0ED3A96C
	v_mfma_i32_16x16x32_i8 v[180:183], a[110:111], v[214:215], v[180:183]// 00000000856C: D3D700B4 0ED3AD6E
	s_waitcnt vmcnt(20)                                        // 000000008574: BF8C4F74
	s_barrier                                                  // 000000008578: BF8A0000
	v_mfma_i32_16x16x32_i8 v[64:67], a[112:113], v[184:185], v[64:67]// 00000000857C: D3D70040 0D037170
	buffer_load_dwordx4 a[0:3], v34, s[24:27], 0 offen         // 000000008584: E05C1000 80860022
	v_mfma_i32_16x16x32_i8 v[64:67], a[114:115], v[186:187], v[64:67]// 00000000858C: D3D70040 0D037572
	v_mfma_i32_16x16x32_i8 v[64:67], a[116:117], v[188:189], v[64:67]// 000000008594: D3D70040 0D037974
	v_mfma_i32_16x16x32_i8 v[64:67], a[118:119], v[190:191], v[64:67]// 00000000859C: D3D70040 0D037D76
	v_mfma_i32_16x16x32_i8 v[64:67], a[120:121], v[192:193], v[64:67]// 0000000085A4: D3D70040 0D038178
	buffer_load_dwordx4 a[4:7], v34, s[24:27], 0 offen offset:1024// 0000000085AC: E05C1400 80860422
	v_mfma_i32_16x16x32_i8 v[64:67], a[122:123], v[194:195], v[64:67]// 0000000085B4: D3D70040 0D03857A
	v_mfma_i32_16x16x32_i8 v[64:67], a[124:125], v[196:197], v[64:67]// 0000000085BC: D3D70040 0D03897C
	v_mfma_i32_16x16x32_i8 v[64:67], a[126:127], v[198:199], v[64:67]// 0000000085C4: D3D70040 0D038D7E
	v_mfma_i32_16x16x32_i8 v[68:71], a[112:113], v[200:201], v[68:71]// 0000000085CC: D3D70044 0D139170
	buffer_load_dwordx4 a[8:11], v34, s[24:27], 0 offen offset:2048// 0000000085D4: E05C1800 80860822
	v_mfma_i32_16x16x32_i8 v[68:71], a[114:115], v[202:203], v[68:71]// 0000000085DC: D3D70044 0D139572
	v_mfma_i32_16x16x32_i8 v[68:71], a[116:117], v[204:205], v[68:71]// 0000000085E4: D3D70044 0D139974
	v_mfma_i32_16x16x32_i8 v[68:71], a[118:119], v[206:207], v[68:71]// 0000000085EC: D3D70044 0D139D76
	v_mfma_i32_16x16x32_i8 v[68:71], a[120:121], v[208:209], v[68:71]// 0000000085F4: D3D70044 0D13A178
	buffer_load_dwordx4 a[12:15], v34, s[24:27], 0 offen offset:3072// 0000000085FC: E05C1C00 80860C22
	v_mfma_i32_16x16x32_i8 v[68:71], a[122:123], v[210:211], v[68:71]// 000000008604: D3D70044 0D13A57A
	v_mfma_i32_16x16x32_i8 v[68:71], a[124:125], v[212:213], v[68:71]// 00000000860C: D3D70044 0D13A97C
	v_mfma_i32_16x16x32_i8 v[68:71], a[126:127], v[214:215], v[68:71]// 000000008614: D3D70044 0D13AD7E
	v_mfma_i32_16x16x32_i8 v[72:75], a[128:129], v[184:185], v[72:75]// 00000000861C: D3D70048 0D237180
	buffer_load_dwordx4 a[16:19], v35, s[24:27], 0 offen       // 000000008624: E05C1000 80861023
	v_mfma_i32_16x16x32_i8 v[72:75], a[130:131], v[186:187], v[72:75]// 00000000862C: D3D70048 0D237582
	v_mfma_i32_16x16x32_i8 v[72:75], a[132:133], v[188:189], v[72:75]// 000000008634: D3D70048 0D237984
	v_mfma_i32_16x16x32_i8 v[72:75], a[134:135], v[190:191], v[72:75]// 00000000863C: D3D70048 0D237D86
	v_mfma_i32_16x16x32_i8 v[72:75], a[136:137], v[192:193], v[72:75]// 000000008644: D3D70048 0D238188
	buffer_load_dwordx4 a[20:23], v35, s[24:27], 0 offen offset:1024// 00000000864C: E05C1400 80861423
	v_mfma_i32_16x16x32_i8 v[72:75], a[138:139], v[194:195], v[72:75]// 000000008654: D3D70048 0D23858A
	v_mfma_i32_16x16x32_i8 v[72:75], a[140:141], v[196:197], v[72:75]// 00000000865C: D3D70048 0D23898C
	v_mfma_i32_16x16x32_i8 v[72:75], a[142:143], v[198:199], v[72:75]// 000000008664: D3D70048 0D238D8E
	v_mfma_i32_16x16x32_i8 v[76:79], a[128:129], v[200:201], v[76:79]// 00000000866C: D3D7004C 0D339180
	buffer_load_dwordx4 a[24:27], v35, s[24:27], 0 offen offset:2048// 000000008674: E05C1800 80861823
	v_mfma_i32_16x16x32_i8 v[76:79], a[130:131], v[202:203], v[76:79]// 00000000867C: D3D7004C 0D339582
	v_mfma_i32_16x16x32_i8 v[76:79], a[132:133], v[204:205], v[76:79]// 000000008684: D3D7004C 0D339984
	v_mfma_i32_16x16x32_i8 v[76:79], a[134:135], v[206:207], v[76:79]// 00000000868C: D3D7004C 0D339D86
	v_mfma_i32_16x16x32_i8 v[76:79], a[136:137], v[208:209], v[76:79]// 000000008694: D3D7004C 0D33A188
	buffer_load_dwordx4 a[28:31], v35, s[24:27], 0 offen offset:3072// 00000000869C: E05C1C00 80861C23
	v_mfma_i32_16x16x32_i8 v[76:79], a[138:139], v[210:211], v[76:79]// 0000000086A4: D3D7004C 0D33A58A
	v_mfma_i32_16x16x32_i8 v[76:79], a[140:141], v[212:213], v[76:79]// 0000000086AC: D3D7004C 0D33A98C
	v_mfma_i32_16x16x32_i8 v[76:79], a[142:143], v[214:215], v[76:79]// 0000000086B4: D3D7004C 0D33AD8E
	s_waitcnt vmcnt(24)                                        // 0000000086BC: BF8C4F78
	v_mfma_i32_16x16x32_i8 v[80:83], a[144:145], v[184:185], v[80:83]// 0000000086C0: D3D70050 0D437190
	buffer_load_dwordx4 a[32:35], v36, s[24:27], 0 offen       // 0000000086C8: E05C1000 80862024
	v_mfma_i32_16x16x32_i8 v[80:83], a[146:147], v[186:187], v[80:83]// 0000000086D0: D3D70050 0D437592
	v_mfma_i32_16x16x32_i8 v[80:83], a[148:149], v[188:189], v[80:83]// 0000000086D8: D3D70050 0D437994
	ds_read_b128 v[216:219], v2 offset:8320                    // 0000000086E0: D9FE2080 D8000002
	v_mfma_i32_16x16x32_i8 v[80:83], a[150:151], v[190:191], v[80:83]// 0000000086E8: D3D70050 0D437D96
	v_mfma_i32_16x16x32_i8 v[80:83], a[152:153], v[192:193], v[80:83]// 0000000086F0: D3D70050 0D438198
	buffer_load_dwordx4 a[36:39], v36, s[24:27], 0 offen offset:1024// 0000000086F8: E05C1400 80862424
	v_mfma_i32_16x16x32_i8 v[80:83], a[154:155], v[194:195], v[80:83]// 000000008700: D3D70050 0D43859A
	v_mfma_i32_16x16x32_i8 v[80:83], a[156:157], v[196:197], v[80:83]// 000000008708: D3D70050 0D43899C
	ds_read_b128 v[220:223], v2 offset:8384                    // 000000008710: D9FE20C0 DC000002
	v_mfma_i32_16x16x32_i8 v[80:83], a[158:159], v[198:199], v[80:83]// 000000008718: D3D70050 0D438D9E
	v_mfma_i32_16x16x32_i8 v[84:87], a[144:145], v[200:201], v[84:87]// 000000008720: D3D70054 0D539190
	buffer_load_dwordx4 a[40:43], v36, s[24:27], 0 offen offset:2048// 000000008728: E05C1800 80862824
	v_mfma_i32_16x16x32_i8 v[84:87], a[146:147], v[202:203], v[84:87]// 000000008730: D3D70054 0D539592
	v_mfma_i32_16x16x32_i8 v[84:87], a[148:149], v[204:205], v[84:87]// 000000008738: D3D70054 0D539994
	ds_read_b128 v[224:227], v2 offset:8448                    // 000000008740: D9FE2100 E0000002
	v_mfma_i32_16x16x32_i8 v[84:87], a[150:151], v[206:207], v[84:87]// 000000008748: D3D70054 0D539D96
	v_mfma_i32_16x16x32_i8 v[84:87], a[152:153], v[208:209], v[84:87]// 000000008750: D3D70054 0D53A198
	buffer_load_dwordx4 a[44:47], v36, s[24:27], 0 offen offset:3072// 000000008758: E05C1C00 80862C24
	v_mfma_i32_16x16x32_i8 v[84:87], a[154:155], v[210:211], v[84:87]// 000000008760: D3D70054 0D53A59A
	v_mfma_i32_16x16x32_i8 v[84:87], a[156:157], v[212:213], v[84:87]// 000000008768: D3D70054 0D53A99C
	ds_read_b128 v[228:231], v2 offset:8512                    // 000000008770: D9FE2140 E4000002
	v_mfma_i32_16x16x32_i8 v[84:87], a[158:159], v[214:215], v[84:87]// 000000008778: D3D70054 0D53AD9E
	s_waitcnt vmcnt(24)                                        // 000000008780: BF8C4F78
	v_mfma_i32_16x16x32_i8 v[88:91], a[160:161], v[184:185], v[88:91]// 000000008784: D3D70058 0D6371A0
	buffer_load_dwordx4 a[48:51], v37, s[24:27], 0 offen       // 00000000878C: E05C1000 80863025
	v_mfma_i32_16x16x32_i8 v[88:91], a[162:163], v[186:187], v[88:91]// 000000008794: D3D70058 0D6375A2
	v_mfma_i32_16x16x32_i8 v[88:91], a[164:165], v[188:189], v[88:91]// 00000000879C: D3D70058 0D6379A4
	ds_read_b128 v[232:235], v2 offset:9344                    // 0000000087A4: D9FE2480 E8000002
	v_mfma_i32_16x16x32_i8 v[88:91], a[166:167], v[190:191], v[88:91]// 0000000087AC: D3D70058 0D637DA6
	v_mfma_i32_16x16x32_i8 v[88:91], a[168:169], v[192:193], v[88:91]// 0000000087B4: D3D70058 0D6381A8
	buffer_load_dwordx4 a[52:55], v37, s[24:27], 0 offen offset:1024// 0000000087BC: E05C1400 80863425
	v_mfma_i32_16x16x32_i8 v[88:91], a[170:171], v[194:195], v[88:91]// 0000000087C4: D3D70058 0D6385AA
	v_mfma_i32_16x16x32_i8 v[88:91], a[172:173], v[196:197], v[88:91]// 0000000087CC: D3D70058 0D6389AC
	ds_read_b128 v[236:239], v2 offset:9408                    // 0000000087D4: D9FE24C0 EC000002
	v_mfma_i32_16x16x32_i8 v[88:91], a[174:175], v[198:199], v[88:91]// 0000000087DC: D3D70058 0D638DAE
	v_mfma_i32_16x16x32_i8 v[92:95], a[160:161], v[200:201], v[92:95]// 0000000087E4: D3D7005C 0D7391A0
	buffer_load_dwordx4 a[56:59], v37, s[24:27], 0 offen offset:2048// 0000000087EC: E05C1800 80863825
	v_mfma_i32_16x16x32_i8 v[92:95], a[162:163], v[202:203], v[92:95]// 0000000087F4: D3D7005C 0D7395A2
	v_mfma_i32_16x16x32_i8 v[92:95], a[164:165], v[204:205], v[92:95]// 0000000087FC: D3D7005C 0D7399A4
	ds_read_b128 v[240:243], v2 offset:9472                    // 000000008804: D9FE2500 F0000002
	v_mfma_i32_16x16x32_i8 v[92:95], a[166:167], v[206:207], v[92:95]// 00000000880C: D3D7005C 0D739DA6
	v_mfma_i32_16x16x32_i8 v[92:95], a[168:169], v[208:209], v[92:95]// 000000008814: D3D7005C 0D73A1A8
	buffer_load_dwordx4 a[60:63], v37, s[24:27], 0 offen offset:3072// 00000000881C: E05C1C00 80863C25
	v_mfma_i32_16x16x32_i8 v[92:95], a[170:171], v[210:211], v[92:95]// 000000008824: D3D7005C 0D73A5AA
	v_mfma_i32_16x16x32_i8 v[92:95], a[172:173], v[212:213], v[92:95]// 00000000882C: D3D7005C 0D73A9AC
	ds_read_b128 v[244:247], v2 offset:9536                    // 000000008834: D9FE2540 F4000002
	v_mfma_i32_16x16x32_i8 v[92:95], a[174:175], v[214:215], v[92:95]// 00000000883C: D3D7005C 0D73ADAE
	s_waitcnt vmcnt(24)                                        // 000000008844: BF8C4F78
	v_mfma_i32_16x16x32_i8 v[96:99], a[176:177], v[184:185], v[96:99]// 000000008848: D3D70060 0D8371B0
	buffer_load_dwordx4 a[64:67], v38, s[24:27], 0 offen       // 000000008850: E05C1000 80864026
	v_mfma_i32_16x16x32_i8 v[96:99], a[178:179], v[186:187], v[96:99]// 000000008858: D3D70060 0D8375B2
	v_mfma_i32_16x16x32_i8 v[96:99], a[180:181], v[188:189], v[96:99]// 000000008860: D3D70060 0D8379B4
	v_mfma_i32_16x16x32_i8 v[96:99], a[182:183], v[190:191], v[96:99]// 000000008868: D3D70060 0D837DB6
	v_mfma_i32_16x16x32_i8 v[96:99], a[184:185], v[192:193], v[96:99]// 000000008870: D3D70060 0D8381B8
	buffer_load_dwordx4 a[68:71], v38, s[24:27], 0 offen offset:1024// 000000008878: E05C1400 80864426
	v_mfma_i32_16x16x32_i8 v[96:99], a[186:187], v[194:195], v[96:99]// 000000008880: D3D70060 0D8385BA
	v_mfma_i32_16x16x32_i8 v[96:99], a[188:189], v[196:197], v[96:99]// 000000008888: D3D70060 0D8389BC
	v_mfma_i32_16x16x32_i8 v[96:99], a[190:191], v[198:199], v[96:99]// 000000008890: D3D70060 0D838DBE
	v_mfma_i32_16x16x32_i8 v[100:103], a[176:177], v[200:201], v[100:103]// 000000008898: D3D70064 0D9391B0
	buffer_load_dwordx4 a[72:75], v38, s[24:27], 0 offen offset:2048// 0000000088A0: E05C1800 80864826
	v_mfma_i32_16x16x32_i8 v[100:103], a[178:179], v[202:203], v[100:103]// 0000000088A8: D3D70064 0D9395B2
	v_mfma_i32_16x16x32_i8 v[100:103], a[180:181], v[204:205], v[100:103]// 0000000088B0: D3D70064 0D9399B4
	v_mfma_i32_16x16x32_i8 v[100:103], a[182:183], v[206:207], v[100:103]// 0000000088B8: D3D70064 0D939DB6
	v_mfma_i32_16x16x32_i8 v[100:103], a[184:185], v[208:209], v[100:103]// 0000000088C0: D3D70064 0D93A1B8
	buffer_load_dwordx4 a[76:79], v38, s[24:27], 0 offen offset:3072// 0000000088C8: E05C1C00 80864C26
	v_mfma_i32_16x16x32_i8 v[100:103], a[186:187], v[210:211], v[100:103]// 0000000088D0: D3D70064 0D93A5BA
	v_mfma_i32_16x16x32_i8 v[100:103], a[188:189], v[212:213], v[100:103]// 0000000088D8: D3D70064 0D93A9BC
	v_mfma_i32_16x16x32_i8 v[100:103], a[190:191], v[214:215], v[100:103]// 0000000088E0: D3D70064 0D93ADBE
	s_waitcnt vmcnt(24)                                        // 0000000088E8: BF8C4F78
	v_mfma_i32_16x16x32_i8 v[104:107], a[192:193], v[184:185], v[104:107]// 0000000088EC: D3D70068 0DA371C0
	buffer_load_dwordx4 a[80:83], v39, s[24:27], 0 offen       // 0000000088F4: E05C1000 80865027
	v_mfma_i32_16x16x32_i8 v[104:107], a[194:195], v[186:187], v[104:107]// 0000000088FC: D3D70068 0DA375C2
	v_mfma_i32_16x16x32_i8 v[104:107], a[196:197], v[188:189], v[104:107]// 000000008904: D3D70068 0DA379C4
	v_mfma_i32_16x16x32_i8 v[104:107], a[198:199], v[190:191], v[104:107]// 00000000890C: D3D70068 0DA37DC6
	v_mfma_i32_16x16x32_i8 v[104:107], a[200:201], v[192:193], v[104:107]// 000000008914: D3D70068 0DA381C8
	buffer_load_dwordx4 a[84:87], v39, s[24:27], 0 offen offset:1024// 00000000891C: E05C1400 80865427
	v_mfma_i32_16x16x32_i8 v[104:107], a[202:203], v[194:195], v[104:107]// 000000008924: D3D70068 0DA385CA
	v_mfma_i32_16x16x32_i8 v[104:107], a[204:205], v[196:197], v[104:107]// 00000000892C: D3D70068 0DA389CC
	v_mfma_i32_16x16x32_i8 v[104:107], a[206:207], v[198:199], v[104:107]// 000000008934: D3D70068 0DA38DCE
	v_mfma_i32_16x16x32_i8 v[108:111], a[192:193], v[200:201], v[108:111]// 00000000893C: D3D7006C 0DB391C0
	buffer_load_dwordx4 a[88:91], v39, s[24:27], 0 offen offset:2048// 000000008944: E05C1800 80865827
	v_mfma_i32_16x16x32_i8 v[108:111], a[194:195], v[202:203], v[108:111]// 00000000894C: D3D7006C 0DB395C2
	v_mfma_i32_16x16x32_i8 v[108:111], a[196:197], v[204:205], v[108:111]// 000000008954: D3D7006C 0DB399C4
	v_mfma_i32_16x16x32_i8 v[108:111], a[198:199], v[206:207], v[108:111]// 00000000895C: D3D7006C 0DB39DC6
	v_mfma_i32_16x16x32_i8 v[108:111], a[200:201], v[208:209], v[108:111]// 000000008964: D3D7006C 0DB3A1C8
	buffer_load_dwordx4 a[92:95], v39, s[24:27], 0 offen offset:3072// 00000000896C: E05C1C00 80865C27
	v_mfma_i32_16x16x32_i8 v[108:111], a[202:203], v[210:211], v[108:111]// 000000008974: D3D7006C 0DB3A5CA
	v_mfma_i32_16x16x32_i8 v[108:111], a[204:205], v[212:213], v[108:111]// 00000000897C: D3D7006C 0DB3A9CC
	v_mfma_i32_16x16x32_i8 v[108:111], a[206:207], v[214:215], v[108:111]// 000000008984: D3D7006C 0DB3ADCE
	s_waitcnt vmcnt(24)                                        // 00000000898C: BF8C4F78
	v_mfma_i32_16x16x32_i8 v[112:115], a[208:209], v[184:185], v[112:115]// 000000008990: D3D70070 0DC371D0
	buffer_load_dwordx4 a[96:99], v40, s[24:27], 0 offen       // 000000008998: E05C1000 80866028
	v_mfma_i32_16x16x32_i8 v[112:115], a[210:211], v[186:187], v[112:115]// 0000000089A0: D3D70070 0DC375D2
	v_mfma_i32_16x16x32_i8 v[112:115], a[212:213], v[188:189], v[112:115]// 0000000089A8: D3D70070 0DC379D4
	v_mfma_i32_16x16x32_i8 v[112:115], a[214:215], v[190:191], v[112:115]// 0000000089B0: D3D70070 0DC37DD6
	v_mfma_i32_16x16x32_i8 v[112:115], a[216:217], v[192:193], v[112:115]// 0000000089B8: D3D70070 0DC381D8
	buffer_load_dwordx4 a[100:103], v40, s[24:27], 0 offen offset:1024// 0000000089C0: E05C1400 80866428
	v_mfma_i32_16x16x32_i8 v[112:115], a[218:219], v[194:195], v[112:115]// 0000000089C8: D3D70070 0DC385DA
	v_mfma_i32_16x16x32_i8 v[112:115], a[220:221], v[196:197], v[112:115]// 0000000089D0: D3D70070 0DC389DC
	v_mfma_i32_16x16x32_i8 v[112:115], a[222:223], v[198:199], v[112:115]// 0000000089D8: D3D70070 0DC38DDE
	v_mfma_i32_16x16x32_i8 v[116:119], a[208:209], v[200:201], v[116:119]// 0000000089E0: D3D70074 0DD391D0
	buffer_load_dwordx4 a[104:107], v40, s[24:27], 0 offen offset:2048// 0000000089E8: E05C1800 80866828
	v_mfma_i32_16x16x32_i8 v[116:119], a[210:211], v[202:203], v[116:119]// 0000000089F0: D3D70074 0DD395D2
	v_mfma_i32_16x16x32_i8 v[116:119], a[212:213], v[204:205], v[116:119]// 0000000089F8: D3D70074 0DD399D4
	v_mfma_i32_16x16x32_i8 v[116:119], a[214:215], v[206:207], v[116:119]// 000000008A00: D3D70074 0DD39DD6
	v_mfma_i32_16x16x32_i8 v[116:119], a[216:217], v[208:209], v[116:119]// 000000008A08: D3D70074 0DD3A1D8
	buffer_load_dwordx4 a[108:111], v40, s[24:27], 0 offen offset:3072// 000000008A10: E05C1C00 80866C28
	v_mfma_i32_16x16x32_i8 v[116:119], a[218:219], v[210:211], v[116:119]// 000000008A18: D3D70074 0DD3A5DA
	v_mfma_i32_16x16x32_i8 v[116:119], a[220:221], v[212:213], v[116:119]// 000000008A20: D3D70074 0DD3A9DC
	v_mfma_i32_16x16x32_i8 v[116:119], a[222:223], v[214:215], v[116:119]// 000000008A28: D3D70074 0DD3ADDE
	s_add_u32 s60, 0x200, s80                                  // 000000008A30: 803C50FF 00000200
	s_cmp_lt_u32 s60, s81                                      // 000000008A38: BF0A513C
	s_cselect_b32 s57, s57, 0                                  // 000000008A3C: 85398039
	s_add_u32 s60, 0x200, s80                                  // 000000008A40: 803C50FF 00000200
	s_cmp_lt_u32 s60, s81                                      // 000000008A48: BF0A513C
	s_cselect_b32 s58, s58, 0                                  // 000000008A4C: 853A803A
	s_add_u32 s20, s57, s20                                    // 000000008A50: 80141439
	s_addc_u32 s21, 0, s21                                     // 000000008A54: 82151580
	s_add_u32 s24, s58, s24                                    // 000000008A58: 8018183A
	s_addc_u32 s25, 0, s25                                     // 000000008A5C: 82191980
	s_add_u32 s92, s90, s92                                    // 000000008A60: 805C5C5A
	s_addc_u32 s93, 0, s93                                     // 000000008A64: 825D5D80
	s_addk_i32 s80, 0x100                                      // 000000008A68: B7500100
	s_cmp_lt_i32 s80, s81                                      // 000000008A6C: BF045150
	s_cbranch_scc0 label_199C                                  // 000000008A70: BF84027F
	s_waitcnt vmcnt(20) lgkmcnt(0)                             // 000000008A74: BF8C4074
	s_barrier                                                  // 000000008A78: BF8A0000
	v_mfma_i32_16x16x32_i8 v[128:131], a[0:1], v[216:217], v[128:131]// 000000008A7C: D3D70080 0E03B100
	buffer_load_dwordx4 a[112:115], v34, s[92:95], 0 offen     // 000000008A84: E05C1000 80977022
	v_mfma_i32_16x16x32_i8 v[128:131], a[2:3], v[218:219], v[128:131]// 000000008A8C: D3D70080 0E03B502
	v_mfma_i32_16x16x32_i8 v[128:131], a[4:5], v[220:221], v[128:131]// 000000008A94: D3D70080 0E03B904
	buffer_load_dword v26, s[20:23], 0 offen lds               // 000000008A9C: E0511000 8005001A
	s_add_u32 m0, 0x100, s50                                   // 000000008AA4: 807C32FF 00000100
	v_mfma_i32_16x16x32_i8 v[128:131], a[6:7], v[222:223], v[128:131]// 000000008AAC: D3D70080 0E03BD06
	v_mfma_i32_16x16x32_i8 v[128:131], a[8:9], v[224:225], v[128:131]// 000000008AB4: D3D70080 0E03C108
	buffer_load_dwordx4 a[116:119], v34, s[92:95], 0 offen offset:1024// 000000008ABC: E05C1400 80977422
	v_mfma_i32_16x16x32_i8 v[128:131], a[10:11], v[226:227], v[128:131]// 000000008AC4: D3D70080 0E03C50A
	v_mfma_i32_16x16x32_i8 v[128:131], a[12:13], v[228:229], v[128:131]// 000000008ACC: D3D70080 0E03C90C
	buffer_load_dword v27, s[20:23], 0 offen lds               // 000000008AD4: E0511000 8005001B
	s_add_u32 m0, 0x200, s50                                   // 000000008ADC: 807C32FF 00000200
	v_mfma_i32_16x16x32_i8 v[128:131], a[14:15], v[230:231], v[128:131]// 000000008AE4: D3D70080 0E03CD0E
	v_mfma_i32_16x16x32_i8 v[132:135], a[0:1], v[232:233], v[132:135]// 000000008AEC: D3D70084 0E13D100
	buffer_load_dwordx4 a[120:123], v34, s[92:95], 0 offen offset:2048// 000000008AF4: E05C1800 80977822
	v_mfma_i32_16x16x32_i8 v[132:135], a[2:3], v[234:235], v[132:135]// 000000008AFC: D3D70084 0E13D502
	v_mfma_i32_16x16x32_i8 v[132:135], a[4:5], v[236:237], v[132:135]// 000000008B04: D3D70084 0E13D904
	buffer_load_dword v28, s[20:23], 0 offen lds               // 000000008B0C: E0511000 8005001C
	s_add_u32 m0, 0x300, s50                                   // 000000008B14: 807C32FF 00000300
	v_mfma_i32_16x16x32_i8 v[132:135], a[6:7], v[238:239], v[132:135]// 000000008B1C: D3D70084 0E13DD06
	v_mfma_i32_16x16x32_i8 v[132:135], a[8:9], v[240:241], v[132:135]// 000000008B24: D3D70084 0E13E108
	buffer_load_dwordx4 a[124:127], v34, s[92:95], 0 offen offset:3072// 000000008B2C: E05C1C00 80977C22
	v_mfma_i32_16x16x32_i8 v[132:135], a[10:11], v[242:243], v[132:135]// 000000008B34: D3D70084 0E13E50A
	v_mfma_i32_16x16x32_i8 v[132:135], a[12:13], v[244:245], v[132:135]// 000000008B3C: D3D70084 0E13E90C
	buffer_load_dword v29, s[20:23], 0 offen lds               // 000000008B44: E0511000 8005001D
	s_add_u32 m0, 0x400, s50                                   // 000000008B4C: 807C32FF 00000400
	v_mfma_i32_16x16x32_i8 v[132:135], a[14:15], v[246:247], v[132:135]// 000000008B54: D3D70084 0E13ED0E
	v_mfma_i32_16x16x32_i8 v[136:139], a[16:17], v[216:217], v[136:139]// 000000008B5C: D3D70088 0E23B110
	buffer_load_dwordx4 a[128:131], v35, s[92:95], 0 offen     // 000000008B64: E05C1000 80978023
	v_mfma_i32_16x16x32_i8 v[136:139], a[18:19], v[218:219], v[136:139]// 000000008B6C: D3D70088 0E23B512
	v_mfma_i32_16x16x32_i8 v[136:139], a[20:21], v[220:221], v[136:139]// 000000008B74: D3D70088 0E23B914
	buffer_load_dword v30, s[20:23], 0 offen lds               // 000000008B7C: E0511000 8005001E
	s_add_u32 m0, 0x500, s50                                   // 000000008B84: 807C32FF 00000500
	v_mfma_i32_16x16x32_i8 v[136:139], a[22:23], v[222:223], v[136:139]// 000000008B8C: D3D70088 0E23BD16
	v_mfma_i32_16x16x32_i8 v[136:139], a[24:25], v[224:225], v[136:139]// 000000008B94: D3D70088 0E23C118
	buffer_load_dwordx4 a[132:135], v35, s[92:95], 0 offen offset:1024// 000000008B9C: E05C1400 80978423
	v_mfma_i32_16x16x32_i8 v[136:139], a[26:27], v[226:227], v[136:139]// 000000008BA4: D3D70088 0E23C51A
	v_mfma_i32_16x16x32_i8 v[136:139], a[28:29], v[228:229], v[136:139]// 000000008BAC: D3D70088 0E23C91C
	buffer_load_dword v31, s[20:23], 0 offen lds               // 000000008BB4: E0511000 8005001F
	s_add_u32 m0, 0x600, s50                                   // 000000008BBC: 807C32FF 00000600
	v_mfma_i32_16x16x32_i8 v[136:139], a[30:31], v[230:231], v[136:139]// 000000008BC4: D3D70088 0E23CD1E
	v_mfma_i32_16x16x32_i8 v[140:143], a[16:17], v[232:233], v[140:143]// 000000008BCC: D3D7008C 0E33D110
	buffer_load_dwordx4 a[136:139], v35, s[92:95], 0 offen offset:2048// 000000008BD4: E05C1800 80978823
	v_mfma_i32_16x16x32_i8 v[140:143], a[18:19], v[234:235], v[140:143]// 000000008BDC: D3D7008C 0E33D512
	v_mfma_i32_16x16x32_i8 v[140:143], a[20:21], v[236:237], v[140:143]// 000000008BE4: D3D7008C 0E33D914
	buffer_load_dword v32, s[20:23], 0 offen lds               // 000000008BEC: E0511000 80050020
	s_add_u32 m0, 0x700, s50                                   // 000000008BF4: 807C32FF 00000700
	v_mfma_i32_16x16x32_i8 v[140:143], a[22:23], v[238:239], v[140:143]// 000000008BFC: D3D7008C 0E33DD16
	v_mfma_i32_16x16x32_i8 v[140:143], a[24:25], v[240:241], v[140:143]// 000000008C04: D3D7008C 0E33E118
	buffer_load_dwordx4 a[140:143], v35, s[92:95], 0 offen offset:3072// 000000008C0C: E05C1C00 80978C23
	v_mfma_i32_16x16x32_i8 v[140:143], a[26:27], v[242:243], v[140:143]// 000000008C14: D3D7008C 0E33E51A
	v_mfma_i32_16x16x32_i8 v[140:143], a[28:29], v[244:245], v[140:143]// 000000008C1C: D3D7008C 0E33E91C
	buffer_load_dword v33, s[20:23], 0 offen lds               // 000000008C24: E0511000 80050021
	s_add_u32 m0, 0, s51                                       // 000000008C2C: 807C3380
	v_mfma_i32_16x16x32_i8 v[140:143], a[30:31], v[246:247], v[140:143]// 000000008C30: D3D7008C 0E33ED1E
	s_waitcnt vmcnt(32)                                        // 000000008C38: BF8C8F70
	v_mfma_i32_16x16x32_i8 v[144:147], a[32:33], v[216:217], v[144:147]// 000000008C3C: D3D70090 0E43B120
	buffer_load_dwordx4 a[144:147], v36, s[92:95], 0 offen     // 000000008C44: E05C1000 80979024
	v_mfma_i32_16x16x32_i8 v[144:147], a[34:35], v[218:219], v[144:147]// 000000008C4C: D3D70090 0E43B522
	v_mfma_i32_16x16x32_i8 v[144:147], a[36:37], v[220:221], v[144:147]// 000000008C54: D3D70090 0E43B924
	v_mfma_i32_16x16x32_i8 v[144:147], a[38:39], v[222:223], v[144:147]// 000000008C5C: D3D70090 0E43BD26
	v_mfma_i32_16x16x32_i8 v[144:147], a[40:41], v[224:225], v[144:147]// 000000008C64: D3D70090 0E43C128
	buffer_load_dwordx4 a[148:151], v36, s[92:95], 0 offen offset:1024// 000000008C6C: E05C1400 80979424
	v_mfma_i32_16x16x32_i8 v[144:147], a[42:43], v[226:227], v[144:147]// 000000008C74: D3D70090 0E43C52A
	v_mfma_i32_16x16x32_i8 v[144:147], a[44:45], v[228:229], v[144:147]// 000000008C7C: D3D70090 0E43C92C
	v_mfma_i32_16x16x32_i8 v[144:147], a[46:47], v[230:231], v[144:147]// 000000008C84: D3D70090 0E43CD2E
	v_mfma_i32_16x16x32_i8 v[148:151], a[32:33], v[232:233], v[148:151]// 000000008C8C: D3D70094 0E53D120
	buffer_load_dwordx4 a[152:155], v36, s[92:95], 0 offen offset:2048// 000000008C94: E05C1800 80979824
	v_mfma_i32_16x16x32_i8 v[148:151], a[34:35], v[234:235], v[148:151]// 000000008C9C: D3D70094 0E53D522
	v_mfma_i32_16x16x32_i8 v[148:151], a[36:37], v[236:237], v[148:151]// 000000008CA4: D3D70094 0E53D924
	v_mfma_i32_16x16x32_i8 v[148:151], a[38:39], v[238:239], v[148:151]// 000000008CAC: D3D70094 0E53DD26
	v_mfma_i32_16x16x32_i8 v[148:151], a[40:41], v[240:241], v[148:151]// 000000008CB4: D3D70094 0E53E128
	buffer_load_dwordx4 a[156:159], v36, s[92:95], 0 offen offset:3072// 000000008CBC: E05C1C00 80979C24
	v_mfma_i32_16x16x32_i8 v[148:151], a[42:43], v[242:243], v[148:151]// 000000008CC4: D3D70094 0E53E52A
	v_mfma_i32_16x16x32_i8 v[148:151], a[44:45], v[244:245], v[148:151]// 000000008CCC: D3D70094 0E53E92C
	v_mfma_i32_16x16x32_i8 v[148:151], a[46:47], v[246:247], v[148:151]// 000000008CD4: D3D70094 0E53ED2E
	s_waitcnt vmcnt(32)                                        // 000000008CDC: BF8C8F70
	v_mfma_i32_16x16x32_i8 v[152:155], a[48:49], v[216:217], v[152:155]// 000000008CE0: D3D70098 0E63B130
	buffer_load_dwordx4 a[160:163], v37, s[92:95], 0 offen     // 000000008CE8: E05C1000 8097A025
	v_mfma_i32_16x16x32_i8 v[152:155], a[50:51], v[218:219], v[152:155]// 000000008CF0: D3D70098 0E63B532
	v_mfma_i32_16x16x32_i8 v[152:155], a[52:53], v[220:221], v[152:155]// 000000008CF8: D3D70098 0E63B934
	v_mfma_i32_16x16x32_i8 v[152:155], a[54:55], v[222:223], v[152:155]// 000000008D00: D3D70098 0E63BD36
	v_mfma_i32_16x16x32_i8 v[152:155], a[56:57], v[224:225], v[152:155]// 000000008D08: D3D70098 0E63C138
	buffer_load_dwordx4 a[164:167], v37, s[92:95], 0 offen offset:1024// 000000008D10: E05C1400 8097A425
	v_mfma_i32_16x16x32_i8 v[152:155], a[58:59], v[226:227], v[152:155]// 000000008D18: D3D70098 0E63C53A
	v_mfma_i32_16x16x32_i8 v[152:155], a[60:61], v[228:229], v[152:155]// 000000008D20: D3D70098 0E63C93C
	v_mfma_i32_16x16x32_i8 v[152:155], a[62:63], v[230:231], v[152:155]// 000000008D28: D3D70098 0E63CD3E
	v_mfma_i32_16x16x32_i8 v[156:159], a[48:49], v[232:233], v[156:159]// 000000008D30: D3D7009C 0E73D130
	buffer_load_dwordx4 a[168:171], v37, s[92:95], 0 offen offset:2048// 000000008D38: E05C1800 8097A825
	v_mfma_i32_16x16x32_i8 v[156:159], a[50:51], v[234:235], v[156:159]// 000000008D40: D3D7009C 0E73D532
	v_mfma_i32_16x16x32_i8 v[156:159], a[52:53], v[236:237], v[156:159]// 000000008D48: D3D7009C 0E73D934
	v_mfma_i32_16x16x32_i8 v[156:159], a[54:55], v[238:239], v[156:159]// 000000008D50: D3D7009C 0E73DD36
	v_mfma_i32_16x16x32_i8 v[156:159], a[56:57], v[240:241], v[156:159]// 000000008D58: D3D7009C 0E73E138
	buffer_load_dwordx4 a[172:175], v37, s[92:95], 0 offen offset:3072// 000000008D60: E05C1C00 8097AC25
	v_mfma_i32_16x16x32_i8 v[156:159], a[58:59], v[242:243], v[156:159]// 000000008D68: D3D7009C 0E73E53A
	v_mfma_i32_16x16x32_i8 v[156:159], a[60:61], v[244:245], v[156:159]// 000000008D70: D3D7009C 0E73E93C
	v_mfma_i32_16x16x32_i8 v[156:159], a[62:63], v[246:247], v[156:159]// 000000008D78: D3D7009C 0E73ED3E
	s_waitcnt vmcnt(32)                                        // 000000008D80: BF8C8F70
	v_mfma_i32_16x16x32_i8 v[160:163], a[64:65], v[216:217], v[160:163]// 000000008D84: D3D700A0 0E83B140
	buffer_load_dwordx4 a[176:179], v38, s[92:95], 0 offen     // 000000008D8C: E05C1000 8097B026
	v_mfma_i32_16x16x32_i8 v[160:163], a[66:67], v[218:219], v[160:163]// 000000008D94: D3D700A0 0E83B542
	v_mfma_i32_16x16x32_i8 v[160:163], a[68:69], v[220:221], v[160:163]// 000000008D9C: D3D700A0 0E83B944
	v_mfma_i32_16x16x32_i8 v[160:163], a[70:71], v[222:223], v[160:163]// 000000008DA4: D3D700A0 0E83BD46
	v_mfma_i32_16x16x32_i8 v[160:163], a[72:73], v[224:225], v[160:163]// 000000008DAC: D3D700A0 0E83C148
	buffer_load_dwordx4 a[180:183], v38, s[92:95], 0 offen offset:1024// 000000008DB4: E05C1400 8097B426
	v_mfma_i32_16x16x32_i8 v[160:163], a[74:75], v[226:227], v[160:163]// 000000008DBC: D3D700A0 0E83C54A
	v_mfma_i32_16x16x32_i8 v[160:163], a[76:77], v[228:229], v[160:163]// 000000008DC4: D3D700A0 0E83C94C
	v_mfma_i32_16x16x32_i8 v[160:163], a[78:79], v[230:231], v[160:163]// 000000008DCC: D3D700A0 0E83CD4E
	v_mfma_i32_16x16x32_i8 v[164:167], a[64:65], v[232:233], v[164:167]// 000000008DD4: D3D700A4 0E93D140
	buffer_load_dwordx4 a[184:187], v38, s[92:95], 0 offen offset:2048// 000000008DDC: E05C1800 8097B826
	v_mfma_i32_16x16x32_i8 v[164:167], a[66:67], v[234:235], v[164:167]// 000000008DE4: D3D700A4 0E93D542
	v_mfma_i32_16x16x32_i8 v[164:167], a[68:69], v[236:237], v[164:167]// 000000008DEC: D3D700A4 0E93D944
	v_mfma_i32_16x16x32_i8 v[164:167], a[70:71], v[238:239], v[164:167]// 000000008DF4: D3D700A4 0E93DD46
	v_mfma_i32_16x16x32_i8 v[164:167], a[72:73], v[240:241], v[164:167]// 000000008DFC: D3D700A4 0E93E148
	buffer_load_dwordx4 a[188:191], v38, s[92:95], 0 offen offset:3072// 000000008E04: E05C1C00 8097BC26
	v_mfma_i32_16x16x32_i8 v[164:167], a[74:75], v[242:243], v[164:167]// 000000008E0C: D3D700A4 0E93E54A
	v_mfma_i32_16x16x32_i8 v[164:167], a[76:77], v[244:245], v[164:167]// 000000008E14: D3D700A4 0E93E94C
	v_mfma_i32_16x16x32_i8 v[164:167], a[78:79], v[246:247], v[164:167]// 000000008E1C: D3D700A4 0E93ED4E
	s_waitcnt vmcnt(32)                                        // 000000008E24: BF8C8F70
	v_mfma_i32_16x16x32_i8 v[168:171], a[80:81], v[216:217], v[168:171]// 000000008E28: D3D700A8 0EA3B150
	buffer_load_dwordx4 a[192:195], v39, s[92:95], 0 offen     // 000000008E30: E05C1000 8097C027
	v_mfma_i32_16x16x32_i8 v[168:171], a[82:83], v[218:219], v[168:171]// 000000008E38: D3D700A8 0EA3B552
	v_mfma_i32_16x16x32_i8 v[168:171], a[84:85], v[220:221], v[168:171]// 000000008E40: D3D700A8 0EA3B954
	v_mfma_i32_16x16x32_i8 v[168:171], a[86:87], v[222:223], v[168:171]// 000000008E48: D3D700A8 0EA3BD56
	v_mfma_i32_16x16x32_i8 v[168:171], a[88:89], v[224:225], v[168:171]// 000000008E50: D3D700A8 0EA3C158
	buffer_load_dwordx4 a[196:199], v39, s[92:95], 0 offen offset:1024// 000000008E58: E05C1400 8097C427
	v_mfma_i32_16x16x32_i8 v[168:171], a[90:91], v[226:227], v[168:171]// 000000008E60: D3D700A8 0EA3C55A
	v_mfma_i32_16x16x32_i8 v[168:171], a[92:93], v[228:229], v[168:171]// 000000008E68: D3D700A8 0EA3C95C
	v_mfma_i32_16x16x32_i8 v[168:171], a[94:95], v[230:231], v[168:171]// 000000008E70: D3D700A8 0EA3CD5E
	v_mfma_i32_16x16x32_i8 v[172:175], a[80:81], v[232:233], v[172:175]// 000000008E78: D3D700AC 0EB3D150
	buffer_load_dwordx4 a[200:203], v39, s[92:95], 0 offen offset:2048// 000000008E80: E05C1800 8097C827
	v_mfma_i32_16x16x32_i8 v[172:175], a[82:83], v[234:235], v[172:175]// 000000008E88: D3D700AC 0EB3D552
	v_mfma_i32_16x16x32_i8 v[172:175], a[84:85], v[236:237], v[172:175]// 000000008E90: D3D700AC 0EB3D954
	v_mfma_i32_16x16x32_i8 v[172:175], a[86:87], v[238:239], v[172:175]// 000000008E98: D3D700AC 0EB3DD56
	v_mfma_i32_16x16x32_i8 v[172:175], a[88:89], v[240:241], v[172:175]// 000000008EA0: D3D700AC 0EB3E158
	buffer_load_dwordx4 a[204:207], v39, s[92:95], 0 offen offset:3072// 000000008EA8: E05C1C00 8097CC27
	v_mfma_i32_16x16x32_i8 v[172:175], a[90:91], v[242:243], v[172:175]// 000000008EB0: D3D700AC 0EB3E55A
	v_mfma_i32_16x16x32_i8 v[172:175], a[92:93], v[244:245], v[172:175]// 000000008EB8: D3D700AC 0EB3E95C
	v_mfma_i32_16x16x32_i8 v[172:175], a[94:95], v[246:247], v[172:175]// 000000008EC0: D3D700AC 0EB3ED5E
	s_waitcnt vmcnt(32)                                        // 000000008EC8: BF8C8F70
	v_mfma_i32_16x16x32_i8 v[176:179], a[96:97], v[216:217], v[176:179]// 000000008ECC: D3D700B0 0EC3B160
	buffer_load_dwordx4 a[208:211], v40, s[92:95], 0 offen     // 000000008ED4: E05C1000 8097D028
	v_mfma_i32_16x16x32_i8 v[176:179], a[98:99], v[218:219], v[176:179]// 000000008EDC: D3D700B0 0EC3B562
	v_mfma_i32_16x16x32_i8 v[176:179], a[100:101], v[220:221], v[176:179]// 000000008EE4: D3D700B0 0EC3B964
	v_mfma_i32_16x16x32_i8 v[176:179], a[102:103], v[222:223], v[176:179]// 000000008EEC: D3D700B0 0EC3BD66
	v_mfma_i32_16x16x32_i8 v[176:179], a[104:105], v[224:225], v[176:179]// 000000008EF4: D3D700B0 0EC3C168
	buffer_load_dwordx4 a[212:215], v40, s[92:95], 0 offen offset:1024// 000000008EFC: E05C1400 8097D428
	v_mfma_i32_16x16x32_i8 v[176:179], a[106:107], v[226:227], v[176:179]// 000000008F04: D3D700B0 0EC3C56A
	v_mfma_i32_16x16x32_i8 v[176:179], a[108:109], v[228:229], v[176:179]// 000000008F0C: D3D700B0 0EC3C96C
	v_mfma_i32_16x16x32_i8 v[176:179], a[110:111], v[230:231], v[176:179]// 000000008F14: D3D700B0 0EC3CD6E
	v_mfma_i32_16x16x32_i8 v[180:183], a[96:97], v[232:233], v[180:183]// 000000008F1C: D3D700B4 0ED3D160
	buffer_load_dwordx4 a[216:219], v40, s[92:95], 0 offen offset:2048// 000000008F24: E05C1800 8097D828
	v_mfma_i32_16x16x32_i8 v[180:183], a[98:99], v[234:235], v[180:183]// 000000008F2C: D3D700B4 0ED3D562
	v_mfma_i32_16x16x32_i8 v[180:183], a[100:101], v[236:237], v[180:183]// 000000008F34: D3D700B4 0ED3D964
	v_mfma_i32_16x16x32_i8 v[180:183], a[102:103], v[238:239], v[180:183]// 000000008F3C: D3D700B4 0ED3DD66
	v_mfma_i32_16x16x32_i8 v[180:183], a[104:105], v[240:241], v[180:183]// 000000008F44: D3D700B4 0ED3E168
	buffer_load_dwordx4 a[220:223], v40, s[92:95], 0 offen offset:3072// 000000008F4C: E05C1C00 8097DC28
	v_mfma_i32_16x16x32_i8 v[180:183], a[106:107], v[242:243], v[180:183]// 000000008F54: D3D700B4 0ED3E56A
	v_mfma_i32_16x16x32_i8 v[180:183], a[108:109], v[244:245], v[180:183]// 000000008F5C: D3D700B4 0ED3E96C
	v_mfma_i32_16x16x32_i8 v[180:183], a[110:111], v[246:247], v[180:183]// 000000008F64: D3D700B4 0ED3ED6E
	s_waitcnt vmcnt(20)                                        // 000000008F6C: BF8C4F74
	s_barrier                                                  // 000000008F70: BF8A0000
	v_mfma_i32_16x16x32_i8 v[64:67], a[112:113], v[216:217], v[64:67]// 000000008F74: D3D70040 0D03B170
	buffer_load_dwordx4 a[0:3], v34, s[24:27], 0 offen         // 000000008F7C: E05C1000 80860022
	v_mfma_i32_16x16x32_i8 v[64:67], a[114:115], v[218:219], v[64:67]// 000000008F84: D3D70040 0D03B572
	v_mfma_i32_16x16x32_i8 v[64:67], a[116:117], v[220:221], v[64:67]// 000000008F8C: D3D70040 0D03B974
	v_mfma_i32_16x16x32_i8 v[64:67], a[118:119], v[222:223], v[64:67]// 000000008F94: D3D70040 0D03BD76
	v_mfma_i32_16x16x32_i8 v[64:67], a[120:121], v[224:225], v[64:67]// 000000008F9C: D3D70040 0D03C178
	buffer_load_dwordx4 a[4:7], v34, s[24:27], 0 offen offset:1024// 000000008FA4: E05C1400 80860422
	v_mfma_i32_16x16x32_i8 v[64:67], a[122:123], v[226:227], v[64:67]// 000000008FAC: D3D70040 0D03C57A
	v_mfma_i32_16x16x32_i8 v[64:67], a[124:125], v[228:229], v[64:67]// 000000008FB4: D3D70040 0D03C97C
	v_mfma_i32_16x16x32_i8 v[64:67], a[126:127], v[230:231], v[64:67]// 000000008FBC: D3D70040 0D03CD7E
	v_mfma_i32_16x16x32_i8 v[68:71], a[112:113], v[232:233], v[68:71]// 000000008FC4: D3D70044 0D13D170
	buffer_load_dwordx4 a[8:11], v34, s[24:27], 0 offen offset:2048// 000000008FCC: E05C1800 80860822
	v_mfma_i32_16x16x32_i8 v[68:71], a[114:115], v[234:235], v[68:71]// 000000008FD4: D3D70044 0D13D572
	v_mfma_i32_16x16x32_i8 v[68:71], a[116:117], v[236:237], v[68:71]// 000000008FDC: D3D70044 0D13D974
	v_mfma_i32_16x16x32_i8 v[68:71], a[118:119], v[238:239], v[68:71]// 000000008FE4: D3D70044 0D13DD76
	v_mfma_i32_16x16x32_i8 v[68:71], a[120:121], v[240:241], v[68:71]// 000000008FEC: D3D70044 0D13E178
	buffer_load_dwordx4 a[12:15], v34, s[24:27], 0 offen offset:3072// 000000008FF4: E05C1C00 80860C22
	v_mfma_i32_16x16x32_i8 v[68:71], a[122:123], v[242:243], v[68:71]// 000000008FFC: D3D70044 0D13E57A
	v_mfma_i32_16x16x32_i8 v[68:71], a[124:125], v[244:245], v[68:71]// 000000009004: D3D70044 0D13E97C
	v_mfma_i32_16x16x32_i8 v[68:71], a[126:127], v[246:247], v[68:71]// 00000000900C: D3D70044 0D13ED7E
	v_mfma_i32_16x16x32_i8 v[72:75], a[128:129], v[216:217], v[72:75]// 000000009014: D3D70048 0D23B180
	buffer_load_dwordx4 a[16:19], v35, s[24:27], 0 offen       // 00000000901C: E05C1000 80861023
	v_mfma_i32_16x16x32_i8 v[72:75], a[130:131], v[218:219], v[72:75]// 000000009024: D3D70048 0D23B582
	v_mfma_i32_16x16x32_i8 v[72:75], a[132:133], v[220:221], v[72:75]// 00000000902C: D3D70048 0D23B984
	v_mfma_i32_16x16x32_i8 v[72:75], a[134:135], v[222:223], v[72:75]// 000000009034: D3D70048 0D23BD86
	v_mfma_i32_16x16x32_i8 v[72:75], a[136:137], v[224:225], v[72:75]// 00000000903C: D3D70048 0D23C188
	buffer_load_dwordx4 a[20:23], v35, s[24:27], 0 offen offset:1024// 000000009044: E05C1400 80861423
	v_mfma_i32_16x16x32_i8 v[72:75], a[138:139], v[226:227], v[72:75]// 00000000904C: D3D70048 0D23C58A
	v_mfma_i32_16x16x32_i8 v[72:75], a[140:141], v[228:229], v[72:75]// 000000009054: D3D70048 0D23C98C
	v_mfma_i32_16x16x32_i8 v[72:75], a[142:143], v[230:231], v[72:75]// 00000000905C: D3D70048 0D23CD8E
	v_mfma_i32_16x16x32_i8 v[76:79], a[128:129], v[232:233], v[76:79]// 000000009064: D3D7004C 0D33D180
	buffer_load_dwordx4 a[24:27], v35, s[24:27], 0 offen offset:2048// 00000000906C: E05C1800 80861823
	v_mfma_i32_16x16x32_i8 v[76:79], a[130:131], v[234:235], v[76:79]// 000000009074: D3D7004C 0D33D582
	v_mfma_i32_16x16x32_i8 v[76:79], a[132:133], v[236:237], v[76:79]// 00000000907C: D3D7004C 0D33D984
	v_mfma_i32_16x16x32_i8 v[76:79], a[134:135], v[238:239], v[76:79]// 000000009084: D3D7004C 0D33DD86
	v_mfma_i32_16x16x32_i8 v[76:79], a[136:137], v[240:241], v[76:79]// 00000000908C: D3D7004C 0D33E188
	buffer_load_dwordx4 a[28:31], v35, s[24:27], 0 offen offset:3072// 000000009094: E05C1C00 80861C23
	v_mfma_i32_16x16x32_i8 v[76:79], a[138:139], v[242:243], v[76:79]// 00000000909C: D3D7004C 0D33E58A
	v_mfma_i32_16x16x32_i8 v[76:79], a[140:141], v[244:245], v[76:79]// 0000000090A4: D3D7004C 0D33E98C
	v_mfma_i32_16x16x32_i8 v[76:79], a[142:143], v[246:247], v[76:79]// 0000000090AC: D3D7004C 0D33ED8E
	s_waitcnt vmcnt(24)                                        // 0000000090B4: BF8C4F78
	v_mfma_i32_16x16x32_i8 v[80:83], a[144:145], v[216:217], v[80:83]// 0000000090B8: D3D70050 0D43B190
	buffer_load_dwordx4 a[32:35], v36, s[24:27], 0 offen       // 0000000090C0: E05C1000 80862024
	v_mfma_i32_16x16x32_i8 v[80:83], a[146:147], v[218:219], v[80:83]// 0000000090C8: D3D70050 0D43B592
	v_mfma_i32_16x16x32_i8 v[80:83], a[148:149], v[220:221], v[80:83]// 0000000090D0: D3D70050 0D43B994
	ds_read_b128 v[184:187], v2                                // 0000000090D8: D9FE0000 B8000002
	v_mfma_i32_16x16x32_i8 v[80:83], a[150:151], v[222:223], v[80:83]// 0000000090E0: D3D70050 0D43BD96
	v_mfma_i32_16x16x32_i8 v[80:83], a[152:153], v[224:225], v[80:83]// 0000000090E8: D3D70050 0D43C198
	buffer_load_dwordx4 a[36:39], v36, s[24:27], 0 offen offset:1024// 0000000090F0: E05C1400 80862424
	v_mfma_i32_16x16x32_i8 v[80:83], a[154:155], v[226:227], v[80:83]// 0000000090F8: D3D70050 0D43C59A
	v_mfma_i32_16x16x32_i8 v[80:83], a[156:157], v[228:229], v[80:83]// 000000009100: D3D70050 0D43C99C
	ds_read_b128 v[188:191], v2 offset:64                      // 000000009108: D9FE0040 BC000002
	v_mfma_i32_16x16x32_i8 v[80:83], a[158:159], v[230:231], v[80:83]// 000000009110: D3D70050 0D43CD9E
	v_mfma_i32_16x16x32_i8 v[84:87], a[144:145], v[232:233], v[84:87]// 000000009118: D3D70054 0D53D190
	buffer_load_dwordx4 a[40:43], v36, s[24:27], 0 offen offset:2048// 000000009120: E05C1800 80862824
	v_mfma_i32_16x16x32_i8 v[84:87], a[146:147], v[234:235], v[84:87]// 000000009128: D3D70054 0D53D592
	v_mfma_i32_16x16x32_i8 v[84:87], a[148:149], v[236:237], v[84:87]// 000000009130: D3D70054 0D53D994
	ds_read_b128 v[192:195], v2 offset:128                     // 000000009138: D9FE0080 C0000002
	v_mfma_i32_16x16x32_i8 v[84:87], a[150:151], v[238:239], v[84:87]// 000000009140: D3D70054 0D53DD96
	v_mfma_i32_16x16x32_i8 v[84:87], a[152:153], v[240:241], v[84:87]// 000000009148: D3D70054 0D53E198
	buffer_load_dwordx4 a[44:47], v36, s[24:27], 0 offen offset:3072// 000000009150: E05C1C00 80862C24
	v_mfma_i32_16x16x32_i8 v[84:87], a[154:155], v[242:243], v[84:87]// 000000009158: D3D70054 0D53E59A
	v_mfma_i32_16x16x32_i8 v[84:87], a[156:157], v[244:245], v[84:87]// 000000009160: D3D70054 0D53E99C
	ds_read_b128 v[196:199], v2 offset:192                     // 000000009168: D9FE00C0 C4000002
	v_mfma_i32_16x16x32_i8 v[84:87], a[158:159], v[246:247], v[84:87]// 000000009170: D3D70054 0D53ED9E
	s_waitcnt vmcnt(24)                                        // 000000009178: BF8C4F78
	v_mfma_i32_16x16x32_i8 v[88:91], a[160:161], v[216:217], v[88:91]// 00000000917C: D3D70058 0D63B1A0
	buffer_load_dwordx4 a[48:51], v37, s[24:27], 0 offen       // 000000009184: E05C1000 80863025
	v_mfma_i32_16x16x32_i8 v[88:91], a[162:163], v[218:219], v[88:91]// 00000000918C: D3D70058 0D63B5A2
	v_mfma_i32_16x16x32_i8 v[88:91], a[164:165], v[220:221], v[88:91]// 000000009194: D3D70058 0D63B9A4
	ds_read_b128 v[200:203], v2 offset:1024                    // 00000000919C: D9FE0400 C8000002
	v_mfma_i32_16x16x32_i8 v[88:91], a[166:167], v[222:223], v[88:91]// 0000000091A4: D3D70058 0D63BDA6
	v_mfma_i32_16x16x32_i8 v[88:91], a[168:169], v[224:225], v[88:91]// 0000000091AC: D3D70058 0D63C1A8
	buffer_load_dwordx4 a[52:55], v37, s[24:27], 0 offen offset:1024// 0000000091B4: E05C1400 80863425
	v_mfma_i32_16x16x32_i8 v[88:91], a[170:171], v[226:227], v[88:91]// 0000000091BC: D3D70058 0D63C5AA
	v_mfma_i32_16x16x32_i8 v[88:91], a[172:173], v[228:229], v[88:91]// 0000000091C4: D3D70058 0D63C9AC
	ds_read_b128 v[204:207], v2 offset:1088                    // 0000000091CC: D9FE0440 CC000002
	v_mfma_i32_16x16x32_i8 v[88:91], a[174:175], v[230:231], v[88:91]// 0000000091D4: D3D70058 0D63CDAE
	v_mfma_i32_16x16x32_i8 v[92:95], a[160:161], v[232:233], v[92:95]// 0000000091DC: D3D7005C 0D73D1A0
	buffer_load_dwordx4 a[56:59], v37, s[24:27], 0 offen offset:2048// 0000000091E4: E05C1800 80863825
	v_mfma_i32_16x16x32_i8 v[92:95], a[162:163], v[234:235], v[92:95]// 0000000091EC: D3D7005C 0D73D5A2
	v_mfma_i32_16x16x32_i8 v[92:95], a[164:165], v[236:237], v[92:95]// 0000000091F4: D3D7005C 0D73D9A4
	ds_read_b128 v[208:211], v2 offset:1152                    // 0000000091FC: D9FE0480 D0000002
	v_mfma_i32_16x16x32_i8 v[92:95], a[166:167], v[238:239], v[92:95]// 000000009204: D3D7005C 0D73DDA6
	v_mfma_i32_16x16x32_i8 v[92:95], a[168:169], v[240:241], v[92:95]// 00000000920C: D3D7005C 0D73E1A8
	buffer_load_dwordx4 a[60:63], v37, s[24:27], 0 offen offset:3072// 000000009214: E05C1C00 80863C25
	v_mfma_i32_16x16x32_i8 v[92:95], a[170:171], v[242:243], v[92:95]// 00000000921C: D3D7005C 0D73E5AA
	v_mfma_i32_16x16x32_i8 v[92:95], a[172:173], v[244:245], v[92:95]// 000000009224: D3D7005C 0D73E9AC
	ds_read_b128 v[212:215], v2 offset:1216                    // 00000000922C: D9FE04C0 D4000002
	v_mfma_i32_16x16x32_i8 v[92:95], a[174:175], v[246:247], v[92:95]// 000000009234: D3D7005C 0D73EDAE
	s_waitcnt vmcnt(24)                                        // 00000000923C: BF8C4F78
	v_mfma_i32_16x16x32_i8 v[96:99], a[176:177], v[216:217], v[96:99]// 000000009240: D3D70060 0D83B1B0
	buffer_load_dwordx4 a[64:67], v38, s[24:27], 0 offen       // 000000009248: E05C1000 80864026
	v_mfma_i32_16x16x32_i8 v[96:99], a[178:179], v[218:219], v[96:99]// 000000009250: D3D70060 0D83B5B2
	v_mfma_i32_16x16x32_i8 v[96:99], a[180:181], v[220:221], v[96:99]// 000000009258: D3D70060 0D83B9B4
	v_mfma_i32_16x16x32_i8 v[96:99], a[182:183], v[222:223], v[96:99]// 000000009260: D3D70060 0D83BDB6
	v_mfma_i32_16x16x32_i8 v[96:99], a[184:185], v[224:225], v[96:99]// 000000009268: D3D70060 0D83C1B8
	buffer_load_dwordx4 a[68:71], v38, s[24:27], 0 offen offset:1024// 000000009270: E05C1400 80864426
	v_mfma_i32_16x16x32_i8 v[96:99], a[186:187], v[226:227], v[96:99]// 000000009278: D3D70060 0D83C5BA
	v_mfma_i32_16x16x32_i8 v[96:99], a[188:189], v[228:229], v[96:99]// 000000009280: D3D70060 0D83C9BC
	v_mfma_i32_16x16x32_i8 v[96:99], a[190:191], v[230:231], v[96:99]// 000000009288: D3D70060 0D83CDBE
	v_mfma_i32_16x16x32_i8 v[100:103], a[176:177], v[232:233], v[100:103]// 000000009290: D3D70064 0D93D1B0
	buffer_load_dwordx4 a[72:75], v38, s[24:27], 0 offen offset:2048// 000000009298: E05C1800 80864826
	v_mfma_i32_16x16x32_i8 v[100:103], a[178:179], v[234:235], v[100:103]// 0000000092A0: D3D70064 0D93D5B2
	v_mfma_i32_16x16x32_i8 v[100:103], a[180:181], v[236:237], v[100:103]// 0000000092A8: D3D70064 0D93D9B4
	v_mfma_i32_16x16x32_i8 v[100:103], a[182:183], v[238:239], v[100:103]// 0000000092B0: D3D70064 0D93DDB6
	v_mfma_i32_16x16x32_i8 v[100:103], a[184:185], v[240:241], v[100:103]// 0000000092B8: D3D70064 0D93E1B8
	buffer_load_dwordx4 a[76:79], v38, s[24:27], 0 offen offset:3072// 0000000092C0: E05C1C00 80864C26
	v_mfma_i32_16x16x32_i8 v[100:103], a[186:187], v[242:243], v[100:103]// 0000000092C8: D3D70064 0D93E5BA
	v_mfma_i32_16x16x32_i8 v[100:103], a[188:189], v[244:245], v[100:103]// 0000000092D0: D3D70064 0D93E9BC
	v_mfma_i32_16x16x32_i8 v[100:103], a[190:191], v[246:247], v[100:103]// 0000000092D8: D3D70064 0D93EDBE
	s_waitcnt vmcnt(24)                                        // 0000000092E0: BF8C4F78
	v_mfma_i32_16x16x32_i8 v[104:107], a[192:193], v[216:217], v[104:107]// 0000000092E4: D3D70068 0DA3B1C0
	buffer_load_dwordx4 a[80:83], v39, s[24:27], 0 offen       // 0000000092EC: E05C1000 80865027
	v_mfma_i32_16x16x32_i8 v[104:107], a[194:195], v[218:219], v[104:107]// 0000000092F4: D3D70068 0DA3B5C2
	v_mfma_i32_16x16x32_i8 v[104:107], a[196:197], v[220:221], v[104:107]// 0000000092FC: D3D70068 0DA3B9C4
	v_mfma_i32_16x16x32_i8 v[104:107], a[198:199], v[222:223], v[104:107]// 000000009304: D3D70068 0DA3BDC6
	v_mfma_i32_16x16x32_i8 v[104:107], a[200:201], v[224:225], v[104:107]// 00000000930C: D3D70068 0DA3C1C8
	buffer_load_dwordx4 a[84:87], v39, s[24:27], 0 offen offset:1024// 000000009314: E05C1400 80865427
	v_mfma_i32_16x16x32_i8 v[104:107], a[202:203], v[226:227], v[104:107]// 00000000931C: D3D70068 0DA3C5CA
	v_mfma_i32_16x16x32_i8 v[104:107], a[204:205], v[228:229], v[104:107]// 000000009324: D3D70068 0DA3C9CC
	v_mfma_i32_16x16x32_i8 v[104:107], a[206:207], v[230:231], v[104:107]// 00000000932C: D3D70068 0DA3CDCE
	v_mfma_i32_16x16x32_i8 v[108:111], a[192:193], v[232:233], v[108:111]// 000000009334: D3D7006C 0DB3D1C0
	buffer_load_dwordx4 a[88:91], v39, s[24:27], 0 offen offset:2048// 00000000933C: E05C1800 80865827
	v_mfma_i32_16x16x32_i8 v[108:111], a[194:195], v[234:235], v[108:111]// 000000009344: D3D7006C 0DB3D5C2
	v_mfma_i32_16x16x32_i8 v[108:111], a[196:197], v[236:237], v[108:111]// 00000000934C: D3D7006C 0DB3D9C4
	v_mfma_i32_16x16x32_i8 v[108:111], a[198:199], v[238:239], v[108:111]// 000000009354: D3D7006C 0DB3DDC6
	v_mfma_i32_16x16x32_i8 v[108:111], a[200:201], v[240:241], v[108:111]// 00000000935C: D3D7006C 0DB3E1C8
	buffer_load_dwordx4 a[92:95], v39, s[24:27], 0 offen offset:3072// 000000009364: E05C1C00 80865C27
	v_mfma_i32_16x16x32_i8 v[108:111], a[202:203], v[242:243], v[108:111]// 00000000936C: D3D7006C 0DB3E5CA
	v_mfma_i32_16x16x32_i8 v[108:111], a[204:205], v[244:245], v[108:111]// 000000009374: D3D7006C 0DB3E9CC
	v_mfma_i32_16x16x32_i8 v[108:111], a[206:207], v[246:247], v[108:111]// 00000000937C: D3D7006C 0DB3EDCE
	s_waitcnt vmcnt(24)                                        // 000000009384: BF8C4F78
	v_mfma_i32_16x16x32_i8 v[112:115], a[208:209], v[216:217], v[112:115]// 000000009388: D3D70070 0DC3B1D0
	buffer_load_dwordx4 a[96:99], v40, s[24:27], 0 offen       // 000000009390: E05C1000 80866028
	v_mfma_i32_16x16x32_i8 v[112:115], a[210:211], v[218:219], v[112:115]// 000000009398: D3D70070 0DC3B5D2
	v_mfma_i32_16x16x32_i8 v[112:115], a[212:213], v[220:221], v[112:115]// 0000000093A0: D3D70070 0DC3B9D4
	v_mfma_i32_16x16x32_i8 v[112:115], a[214:215], v[222:223], v[112:115]// 0000000093A8: D3D70070 0DC3BDD6
	v_mfma_i32_16x16x32_i8 v[112:115], a[216:217], v[224:225], v[112:115]// 0000000093B0: D3D70070 0DC3C1D8
	buffer_load_dwordx4 a[100:103], v40, s[24:27], 0 offen offset:1024// 0000000093B8: E05C1400 80866428
	v_mfma_i32_16x16x32_i8 v[112:115], a[218:219], v[226:227], v[112:115]// 0000000093C0: D3D70070 0DC3C5DA
	v_mfma_i32_16x16x32_i8 v[112:115], a[220:221], v[228:229], v[112:115]// 0000000093C8: D3D70070 0DC3C9DC
	v_mfma_i32_16x16x32_i8 v[112:115], a[222:223], v[230:231], v[112:115]// 0000000093D0: D3D70070 0DC3CDDE
	v_mfma_i32_16x16x32_i8 v[116:119], a[208:209], v[232:233], v[116:119]// 0000000093D8: D3D70074 0DD3D1D0
	buffer_load_dwordx4 a[104:107], v40, s[24:27], 0 offen offset:2048// 0000000093E0: E05C1800 80866828
	v_mfma_i32_16x16x32_i8 v[116:119], a[210:211], v[234:235], v[116:119]// 0000000093E8: D3D70074 0DD3D5D2
	v_mfma_i32_16x16x32_i8 v[116:119], a[212:213], v[236:237], v[116:119]// 0000000093F0: D3D70074 0DD3D9D4
	v_mfma_i32_16x16x32_i8 v[116:119], a[214:215], v[238:239], v[116:119]// 0000000093F8: D3D70074 0DD3DDD6
	v_mfma_i32_16x16x32_i8 v[116:119], a[216:217], v[240:241], v[116:119]// 000000009400: D3D70074 0DD3E1D8
	buffer_load_dwordx4 a[108:111], v40, s[24:27], 0 offen offset:3072// 000000009408: E05C1C00 80866C28
	v_mfma_i32_16x16x32_i8 v[116:119], a[218:219], v[242:243], v[116:119]// 000000009410: D3D70074 0DD3E5DA
	v_mfma_i32_16x16x32_i8 v[116:119], a[220:221], v[244:245], v[116:119]// 000000009418: D3D70074 0DD3E9DC
	v_mfma_i32_16x16x32_i8 v[116:119], a[222:223], v[246:247], v[116:119]// 000000009420: D3D70074 0DD3EDDE
	s_add_u32 s60, 0x200, s80                                  // 000000009428: 803C50FF 00000200
	s_cmp_lt_u32 s60, s81                                      // 000000009430: BF0A513C
	s_cselect_b32 s57, s57, 0                                  // 000000009434: 85398039
	s_add_u32 s60, 0x200, s80                                  // 000000009438: 803C50FF 00000200
	s_cmp_lt_u32 s60, s81                                      // 000000009440: BF0A513C
	s_cselect_b32 s58, s58, 0                                  // 000000009444: 853A803A
	s_add_u32 s20, s57, s20                                    // 000000009448: 80141439
	s_addc_u32 s21, 0, s21                                     // 00000000944C: 82151580
	s_add_u32 s24, s58, s24                                    // 000000009450: 8018183A
	s_addc_u32 s25, 0, s25                                     // 000000009454: 82191980
	s_add_u32 s92, s90, s92                                    // 000000009458: 805C5C5A
	s_addc_u32 s93, 0, s93                                     // 00000000945C: 825D5D80
	s_addk_i32 s80, 0x100                                      // 000000009460: B7500100
	s_cmp_lt_i32 s80, s81                                      // 000000009464: BF045150
	s_cbranch_scc0 label_199C                                  // 000000009468: BF840001
	s_branch label_149F                                        // 00000000946C: BF82FB03

0000000000009470 <label_199C>:
	s_mov_b32 s36, -1                                          // 000000009470: BEA400C1
	s_mov_b32 s37, -1                                          // 000000009474: BEA500C1
	s_mov_b64 s[60:61], 0                                      // 000000009478: BEBC0180
	s_cmp_lt_u32 s82, s66                                      // 00000000947C: BF0A4252
	s_cselect_b64 s[20:21], s[36:37], s[60:61]                 // 000000009480: 85943C24
	s_cmp_lt_u32 s83, s66                                      // 000000009484: BF0A4253
	s_cselect_b64 s[22:23], s[36:37], s[60:61]                 // 000000009488: 85963C24
	s_cmp_lt_u32 s84, s66                                      // 00000000948C: BF0A4254
	s_cselect_b64 s[24:25], s[36:37], s[60:61]                 // 000000009490: 85983C24
	s_cmp_lt_u32 s85, s66                                      // 000000009494: BF0A4255
	s_cselect_b64 s[26:27], s[36:37], s[60:61]                 // 000000009498: 859A3C24
	s_cmp_lt_u32 s86, s66                                      // 00000000949C: BF0A4256
	s_cselect_b64 s[28:29], s[36:37], s[60:61]                 // 0000000094A0: 859C3C24
	s_cmp_lt_u32 s87, s66                                      // 0000000094A4: BF0A4257
	s_cselect_b64 s[30:31], s[36:37], s[60:61]                 // 0000000094A8: 859E3C24
	s_cmp_lt_u32 s88, s66                                      // 0000000094AC: BF0A4258
	s_cselect_b64 s[32:33], s[36:37], s[60:61]                 // 0000000094B0: 85A03C24
	s_cmp_lt_u32 s89, s66                                      // 0000000094B4: BF0A4259
	s_cselect_b64 s[34:35], s[36:37], s[60:61]                 // 0000000094B8: 85A23C24
	v_cvt_f32_i32_e32 v128, v128                               // 0000000094BC: 7F000B80
	v_cvt_f32_i32_e32 v129, v129                               // 0000000094C0: 7F020B81
	v_cvt_f32_i32_e32 v130, v130                               // 0000000094C4: 7F040B82
	v_cvt_f32_i32_e32 v131, v131                               // 0000000094C8: 7F060B83
	v_mul_f32_e32 v128, v14, v128                              // 0000000094CC: 0B01010E
	v_mul_f32_e32 v129, v14, v129                              // 0000000094D0: 0B03030E
	v_mul_f32_e32 v130, v14, v130                              // 0000000094D4: 0B05050E
	v_mul_f32_e32 v131, v14, v131                              // 0000000094D8: 0B07070E
	v_mul_f32_dpp v128, v16, v128 row_newbcast:0 row_mask:0xf bank_mask:0xf// 0000000094DC: 0B0100FA FF015010
	v_mul_f32_dpp v129, v16, v129 row_newbcast:1 row_mask:0xf bank_mask:0xf// 0000000094E4: 0B0302FA FF015110
	v_mul_f32_dpp v130, v16, v130 row_newbcast:2 row_mask:0xf bank_mask:0xf// 0000000094EC: 0B0504FA FF015210
	v_mul_f32_dpp v131, v16, v131 row_newbcast:3 row_mask:0xf bank_mask:0xf// 0000000094F4: 0B0706FA FF015310
	v_cvt_f32_i32_e32 v132, v132                               // 0000000094FC: 7F080B84
	v_cvt_f32_i32_e32 v133, v133                               // 000000009500: 7F0A0B85
	v_cvt_f32_i32_e32 v134, v134                               // 000000009504: 7F0C0B86
	v_cvt_f32_i32_e32 v135, v135                               // 000000009508: 7F0E0B87
	v_mul_f32_e32 v132, v15, v132                              // 00000000950C: 0B09090F
	v_mul_f32_e32 v133, v15, v133                              // 000000009510: 0B0B0B0F
	v_mul_f32_e32 v134, v15, v134                              // 000000009514: 0B0D0D0F
	v_mul_f32_e32 v135, v15, v135                              // 000000009518: 0B0F0F0F
	v_mul_f32_dpp v132, v16, v132 row_newbcast:0 row_mask:0xf bank_mask:0xf// 00000000951C: 0B0908FA FF015010
	v_mul_f32_dpp v133, v16, v133 row_newbcast:1 row_mask:0xf bank_mask:0xf// 000000009524: 0B0B0AFA FF015110
	v_mul_f32_dpp v134, v16, v134 row_newbcast:2 row_mask:0xf bank_mask:0xf// 00000000952C: 0B0D0CFA FF015210
	v_mul_f32_dpp v135, v16, v135 row_newbcast:3 row_mask:0xf bank_mask:0xf// 000000009534: 0B0F0EFA FF015310
	v_cvt_f32_i32_e32 v136, v136                               // 00000000953C: 7F100B88
	v_cvt_f32_i32_e32 v137, v137                               // 000000009540: 7F120B89
	v_cvt_f32_i32_e32 v138, v138                               // 000000009544: 7F140B8A
	v_cvt_f32_i32_e32 v139, v139                               // 000000009548: 7F160B8B
	v_mul_f32_e32 v136, v14, v136                              // 00000000954C: 0B11110E
	v_mul_f32_e32 v137, v14, v137                              // 000000009550: 0B13130E
	v_mul_f32_e32 v138, v14, v138                              // 000000009554: 0B15150E
	v_mul_f32_e32 v139, v14, v139                              // 000000009558: 0B17170E
	v_mul_f32_dpp v136, v16, v136 row_newbcast:4 row_mask:0xf bank_mask:0xf// 00000000955C: 0B1110FA FF015410
	v_mul_f32_dpp v137, v16, v137 row_newbcast:5 row_mask:0xf bank_mask:0xf// 000000009564: 0B1312FA FF015510
	v_mul_f32_dpp v138, v16, v138 row_newbcast:6 row_mask:0xf bank_mask:0xf// 00000000956C: 0B1514FA FF015610
	v_mul_f32_dpp v139, v16, v139 row_newbcast:7 row_mask:0xf bank_mask:0xf// 000000009574: 0B1716FA FF015710
	v_cvt_f32_i32_e32 v140, v140                               // 00000000957C: 7F180B8C
	v_cvt_f32_i32_e32 v141, v141                               // 000000009580: 7F1A0B8D
	v_cvt_f32_i32_e32 v142, v142                               // 000000009584: 7F1C0B8E
	v_cvt_f32_i32_e32 v143, v143                               // 000000009588: 7F1E0B8F
	v_mul_f32_e32 v140, v15, v140                              // 00000000958C: 0B19190F
	v_mul_f32_e32 v141, v15, v141                              // 000000009590: 0B1B1B0F
	v_mul_f32_e32 v142, v15, v142                              // 000000009594: 0B1D1D0F
	v_mul_f32_e32 v143, v15, v143                              // 000000009598: 0B1F1F0F
	v_mul_f32_dpp v140, v16, v140 row_newbcast:4 row_mask:0xf bank_mask:0xf// 00000000959C: 0B1918FA FF015410
	v_mul_f32_dpp v141, v16, v141 row_newbcast:5 row_mask:0xf bank_mask:0xf// 0000000095A4: 0B1B1AFA FF015510
	v_mul_f32_dpp v142, v16, v142 row_newbcast:6 row_mask:0xf bank_mask:0xf// 0000000095AC: 0B1D1CFA FF015610
	v_mul_f32_dpp v143, v16, v143 row_newbcast:7 row_mask:0xf bank_mask:0xf// 0000000095B4: 0B1F1EFA FF015710
	v_cvt_f32_i32_e32 v144, v144                               // 0000000095BC: 7F200B90
	v_cvt_f32_i32_e32 v145, v145                               // 0000000095C0: 7F220B91
	v_cvt_f32_i32_e32 v146, v146                               // 0000000095C4: 7F240B92
	v_cvt_f32_i32_e32 v147, v147                               // 0000000095C8: 7F260B93
	v_mul_f32_e32 v144, v14, v144                              // 0000000095CC: 0B21210E
	v_mul_f32_e32 v145, v14, v145                              // 0000000095D0: 0B23230E
	v_mul_f32_e32 v146, v14, v146                              // 0000000095D4: 0B25250E
	v_mul_f32_e32 v147, v14, v147                              // 0000000095D8: 0B27270E
	v_mul_f32_dpp v144, v16, v144 row_newbcast:8 row_mask:0xf bank_mask:0xf// 0000000095DC: 0B2120FA FF015810
	v_mul_f32_dpp v145, v16, v145 row_newbcast:9 row_mask:0xf bank_mask:0xf// 0000000095E4: 0B2322FA FF015910
	v_mul_f32_dpp v146, v16, v146 row_newbcast:10 row_mask:0xf bank_mask:0xf// 0000000095EC: 0B2524FA FF015A10
	v_mul_f32_dpp v147, v16, v147 row_newbcast:11 row_mask:0xf bank_mask:0xf// 0000000095F4: 0B2726FA FF015B10
	v_cvt_f32_i32_e32 v148, v148                               // 0000000095FC: 7F280B94
	v_cvt_f32_i32_e32 v149, v149                               // 000000009600: 7F2A0B95
	v_cvt_f32_i32_e32 v150, v150                               // 000000009604: 7F2C0B96
	v_cvt_f32_i32_e32 v151, v151                               // 000000009608: 7F2E0B97
	v_mul_f32_e32 v148, v15, v148                              // 00000000960C: 0B29290F
	v_mul_f32_e32 v149, v15, v149                              // 000000009610: 0B2B2B0F
	v_mul_f32_e32 v150, v15, v150                              // 000000009614: 0B2D2D0F
	v_mul_f32_e32 v151, v15, v151                              // 000000009618: 0B2F2F0F
	v_mul_f32_dpp v148, v16, v148 row_newbcast:8 row_mask:0xf bank_mask:0xf// 00000000961C: 0B2928FA FF015810
	v_mul_f32_dpp v149, v16, v149 row_newbcast:9 row_mask:0xf bank_mask:0xf// 000000009624: 0B2B2AFA FF015910
	v_mul_f32_dpp v150, v16, v150 row_newbcast:10 row_mask:0xf bank_mask:0xf// 00000000962C: 0B2D2CFA FF015A10
	v_mul_f32_dpp v151, v16, v151 row_newbcast:11 row_mask:0xf bank_mask:0xf// 000000009634: 0B2F2EFA FF015B10
	v_cvt_f32_i32_e32 v152, v152                               // 00000000963C: 7F300B98
	v_cvt_f32_i32_e32 v153, v153                               // 000000009640: 7F320B99
	v_cvt_f32_i32_e32 v154, v154                               // 000000009644: 7F340B9A
	v_cvt_f32_i32_e32 v155, v155                               // 000000009648: 7F360B9B
	v_mul_f32_e32 v152, v14, v152                              // 00000000964C: 0B31310E
	v_mul_f32_e32 v153, v14, v153                              // 000000009650: 0B33330E
	v_mul_f32_e32 v154, v14, v154                              // 000000009654: 0B35350E
	v_mul_f32_e32 v155, v14, v155                              // 000000009658: 0B37370E
	v_mul_f32_dpp v152, v16, v152 row_newbcast:12 row_mask:0xf bank_mask:0xf// 00000000965C: 0B3130FA FF015C10
	v_mul_f32_dpp v153, v16, v153 row_newbcast:13 row_mask:0xf bank_mask:0xf// 000000009664: 0B3332FA FF015D10
	v_mul_f32_dpp v154, v16, v154 row_newbcast:14 row_mask:0xf bank_mask:0xf// 00000000966C: 0B3534FA FF015E10
	v_mul_f32_dpp v155, v16, v155 row_newbcast:15 row_mask:0xf bank_mask:0xf// 000000009674: 0B3736FA FF015F10
	v_cvt_f32_i32_e32 v156, v156                               // 00000000967C: 7F380B9C
	v_cvt_f32_i32_e32 v157, v157                               // 000000009680: 7F3A0B9D
	v_cvt_f32_i32_e32 v158, v158                               // 000000009684: 7F3C0B9E
	v_cvt_f32_i32_e32 v159, v159                               // 000000009688: 7F3E0B9F
	v_mul_f32_e32 v156, v15, v156                              // 00000000968C: 0B39390F
	v_mul_f32_e32 v157, v15, v157                              // 000000009690: 0B3B3B0F
	v_mul_f32_e32 v158, v15, v158                              // 000000009694: 0B3D3D0F
	v_mul_f32_e32 v159, v15, v159                              // 000000009698: 0B3F3F0F
	v_mul_f32_dpp v156, v16, v156 row_newbcast:12 row_mask:0xf bank_mask:0xf// 00000000969C: 0B3938FA FF015C10
	v_mul_f32_dpp v157, v16, v157 row_newbcast:13 row_mask:0xf bank_mask:0xf// 0000000096A4: 0B3B3AFA FF015D10
	v_mul_f32_dpp v158, v16, v158 row_newbcast:14 row_mask:0xf bank_mask:0xf// 0000000096AC: 0B3D3CFA FF015E10
	v_mul_f32_dpp v159, v16, v159 row_newbcast:15 row_mask:0xf bank_mask:0xf// 0000000096B4: 0B3F3EFA FF015F10
	v_cvt_f32_i32_e32 v160, v160                               // 0000000096BC: 7F400BA0
	v_cvt_f32_i32_e32 v161, v161                               // 0000000096C0: 7F420BA1
	v_cvt_f32_i32_e32 v162, v162                               // 0000000096C4: 7F440BA2
	v_cvt_f32_i32_e32 v163, v163                               // 0000000096C8: 7F460BA3
	v_mul_f32_e32 v160, v14, v160                              // 0000000096CC: 0B41410E
	v_mul_f32_e32 v161, v14, v161                              // 0000000096D0: 0B43430E
	v_mul_f32_e32 v162, v14, v162                              // 0000000096D4: 0B45450E
	v_mul_f32_e32 v163, v14, v163                              // 0000000096D8: 0B47470E
	v_mul_f32_dpp v160, v17, v160 row_newbcast:0 row_mask:0xf bank_mask:0xf// 0000000096DC: 0B4140FA FF015011
	v_mul_f32_dpp v161, v17, v161 row_newbcast:1 row_mask:0xf bank_mask:0xf// 0000000096E4: 0B4342FA FF015111
	v_mul_f32_dpp v162, v17, v162 row_newbcast:2 row_mask:0xf bank_mask:0xf// 0000000096EC: 0B4544FA FF015211
	v_mul_f32_dpp v163, v17, v163 row_newbcast:3 row_mask:0xf bank_mask:0xf// 0000000096F4: 0B4746FA FF015311
	v_cvt_f32_i32_e32 v164, v164                               // 0000000096FC: 7F480BA4
	v_cvt_f32_i32_e32 v165, v165                               // 000000009700: 7F4A0BA5
	v_cvt_f32_i32_e32 v166, v166                               // 000000009704: 7F4C0BA6
	v_cvt_f32_i32_e32 v167, v167                               // 000000009708: 7F4E0BA7
	v_mul_f32_e32 v164, v15, v164                              // 00000000970C: 0B49490F
	v_mul_f32_e32 v165, v15, v165                              // 000000009710: 0B4B4B0F
	v_mul_f32_e32 v166, v15, v166                              // 000000009714: 0B4D4D0F
	v_mul_f32_e32 v167, v15, v167                              // 000000009718: 0B4F4F0F
	v_mul_f32_dpp v164, v17, v164 row_newbcast:0 row_mask:0xf bank_mask:0xf// 00000000971C: 0B4948FA FF015011
	v_mul_f32_dpp v165, v17, v165 row_newbcast:1 row_mask:0xf bank_mask:0xf// 000000009724: 0B4B4AFA FF015111
	v_mul_f32_dpp v166, v17, v166 row_newbcast:2 row_mask:0xf bank_mask:0xf// 00000000972C: 0B4D4CFA FF015211
	v_mul_f32_dpp v167, v17, v167 row_newbcast:3 row_mask:0xf bank_mask:0xf// 000000009734: 0B4F4EFA FF015311
	v_cvt_f32_i32_e32 v168, v168                               // 00000000973C: 7F500BA8
	v_cvt_f32_i32_e32 v169, v169                               // 000000009740: 7F520BA9
	v_cvt_f32_i32_e32 v170, v170                               // 000000009744: 7F540BAA
	v_cvt_f32_i32_e32 v171, v171                               // 000000009748: 7F560BAB
	v_mul_f32_e32 v168, v14, v168                              // 00000000974C: 0B51510E
	v_mul_f32_e32 v169, v14, v169                              // 000000009750: 0B53530E
	v_mul_f32_e32 v170, v14, v170                              // 000000009754: 0B55550E
	v_mul_f32_e32 v171, v14, v171                              // 000000009758: 0B57570E
	v_mul_f32_dpp v168, v17, v168 row_newbcast:4 row_mask:0xf bank_mask:0xf// 00000000975C: 0B5150FA FF015411
	v_mul_f32_dpp v169, v17, v169 row_newbcast:5 row_mask:0xf bank_mask:0xf// 000000009764: 0B5352FA FF015511
	v_mul_f32_dpp v170, v17, v170 row_newbcast:6 row_mask:0xf bank_mask:0xf// 00000000976C: 0B5554FA FF015611
	v_mul_f32_dpp v171, v17, v171 row_newbcast:7 row_mask:0xf bank_mask:0xf// 000000009774: 0B5756FA FF015711
	v_cvt_f32_i32_e32 v172, v172                               // 00000000977C: 7F580BAC
	v_cvt_f32_i32_e32 v173, v173                               // 000000009780: 7F5A0BAD
	v_cvt_f32_i32_e32 v174, v174                               // 000000009784: 7F5C0BAE
	v_cvt_f32_i32_e32 v175, v175                               // 000000009788: 7F5E0BAF
	v_mul_f32_e32 v172, v15, v172                              // 00000000978C: 0B59590F
	v_mul_f32_e32 v173, v15, v173                              // 000000009790: 0B5B5B0F
	v_mul_f32_e32 v174, v15, v174                              // 000000009794: 0B5D5D0F
	v_mul_f32_e32 v175, v15, v175                              // 000000009798: 0B5F5F0F
	v_mul_f32_dpp v172, v17, v172 row_newbcast:4 row_mask:0xf bank_mask:0xf// 00000000979C: 0B5958FA FF015411
	v_mul_f32_dpp v173, v17, v173 row_newbcast:5 row_mask:0xf bank_mask:0xf// 0000000097A4: 0B5B5AFA FF015511
	v_mul_f32_dpp v174, v17, v174 row_newbcast:6 row_mask:0xf bank_mask:0xf// 0000000097AC: 0B5D5CFA FF015611
	v_mul_f32_dpp v175, v17, v175 row_newbcast:7 row_mask:0xf bank_mask:0xf// 0000000097B4: 0B5F5EFA FF015711
	v_cvt_f32_i32_e32 v176, v176                               // 0000000097BC: 7F600BB0
	v_cvt_f32_i32_e32 v177, v177                               // 0000000097C0: 7F620BB1
	v_cvt_f32_i32_e32 v178, v178                               // 0000000097C4: 7F640BB2
	v_cvt_f32_i32_e32 v179, v179                               // 0000000097C8: 7F660BB3
	v_mul_f32_e32 v176, v14, v176                              // 0000000097CC: 0B61610E
	v_mul_f32_e32 v177, v14, v177                              // 0000000097D0: 0B63630E
	v_mul_f32_e32 v178, v14, v178                              // 0000000097D4: 0B65650E
	v_mul_f32_e32 v179, v14, v179                              // 0000000097D8: 0B67670E
	v_mul_f32_dpp v176, v17, v176 row_newbcast:8 row_mask:0xf bank_mask:0xf// 0000000097DC: 0B6160FA FF015811
	v_mul_f32_dpp v177, v17, v177 row_newbcast:9 row_mask:0xf bank_mask:0xf// 0000000097E4: 0B6362FA FF015911
	v_mul_f32_dpp v178, v17, v178 row_newbcast:10 row_mask:0xf bank_mask:0xf// 0000000097EC: 0B6564FA FF015A11
	v_mul_f32_dpp v179, v17, v179 row_newbcast:11 row_mask:0xf bank_mask:0xf// 0000000097F4: 0B6766FA FF015B11
	v_cvt_f32_i32_e32 v180, v180                               // 0000000097FC: 7F680BB4
	v_cvt_f32_i32_e32 v181, v181                               // 000000009800: 7F6A0BB5
	v_cvt_f32_i32_e32 v182, v182                               // 000000009804: 7F6C0BB6
	v_cvt_f32_i32_e32 v183, v183                               // 000000009808: 7F6E0BB7
	v_mul_f32_e32 v180, v15, v180                              // 00000000980C: 0B69690F
	v_mul_f32_e32 v181, v15, v181                              // 000000009810: 0B6B6B0F
	v_mul_f32_e32 v182, v15, v182                              // 000000009814: 0B6D6D0F
	v_mul_f32_e32 v183, v15, v183                              // 000000009818: 0B6F6F0F
	v_mul_f32_dpp v180, v17, v180 row_newbcast:8 row_mask:0xf bank_mask:0xf// 00000000981C: 0B6968FA FF015811
	v_mul_f32_dpp v181, v17, v181 row_newbcast:9 row_mask:0xf bank_mask:0xf// 000000009824: 0B6B6AFA FF015911
	v_mul_f32_dpp v182, v17, v182 row_newbcast:10 row_mask:0xf bank_mask:0xf// 00000000982C: 0B6D6CFA FF015A11
	v_mul_f32_dpp v183, v17, v183 row_newbcast:11 row_mask:0xf bank_mask:0xf// 000000009834: 0B6F6EFA FF015B11
	v_cvt_f32_i32_e32 v64, v64                                 // 00000000983C: 7E800B40
	v_cvt_f32_i32_e32 v65, v65                                 // 000000009840: 7E820B41
	v_cvt_f32_i32_e32 v66, v66                                 // 000000009844: 7E840B42
	v_cvt_f32_i32_e32 v67, v67                                 // 000000009848: 7E860B43
	v_mul_f32_e32 v64, v14, v64                                // 00000000984C: 0A80810E
	v_mul_f32_e32 v65, v14, v65                                // 000000009850: 0A82830E
	v_mul_f32_e32 v66, v14, v66                                // 000000009854: 0A84850E
	v_mul_f32_e32 v67, v14, v67                                // 000000009858: 0A86870E
	v_mul_f32_dpp v64, v49, v64 row_newbcast:0 row_mask:0xf bank_mask:0xf// 00000000985C: 0A8080FA FF015031
	v_mul_f32_dpp v65, v49, v65 row_newbcast:1 row_mask:0xf bank_mask:0xf// 000000009864: 0A8282FA FF015131
	v_mul_f32_dpp v66, v49, v66 row_newbcast:2 row_mask:0xf bank_mask:0xf// 00000000986C: 0A8484FA FF015231
	v_mul_f32_dpp v67, v49, v67 row_newbcast:3 row_mask:0xf bank_mask:0xf// 000000009874: 0A8686FA FF015331
	v_cvt_f32_i32_e32 v68, v68                                 // 00000000987C: 7E880B44
	v_cvt_f32_i32_e32 v69, v69                                 // 000000009880: 7E8A0B45
	v_cvt_f32_i32_e32 v70, v70                                 // 000000009884: 7E8C0B46
	v_cvt_f32_i32_e32 v71, v71                                 // 000000009888: 7E8E0B47
	v_mul_f32_e32 v68, v15, v68                                // 00000000988C: 0A88890F
	v_mul_f32_e32 v69, v15, v69                                // 000000009890: 0A8A8B0F
	v_mul_f32_e32 v70, v15, v70                                // 000000009894: 0A8C8D0F
	v_mul_f32_e32 v71, v15, v71                                // 000000009898: 0A8E8F0F
	v_mul_f32_dpp v68, v49, v68 row_newbcast:0 row_mask:0xf bank_mask:0xf// 00000000989C: 0A8888FA FF015031
	v_mul_f32_dpp v69, v49, v69 row_newbcast:1 row_mask:0xf bank_mask:0xf// 0000000098A4: 0A8A8AFA FF015131
	v_mul_f32_dpp v70, v49, v70 row_newbcast:2 row_mask:0xf bank_mask:0xf// 0000000098AC: 0A8C8CFA FF015231
	v_mul_f32_dpp v71, v49, v71 row_newbcast:3 row_mask:0xf bank_mask:0xf// 0000000098B4: 0A8E8EFA FF015331
	v_cvt_f32_i32_e32 v72, v72                                 // 0000000098BC: 7E900B48
	v_cvt_f32_i32_e32 v73, v73                                 // 0000000098C0: 7E920B49
	v_cvt_f32_i32_e32 v74, v74                                 // 0000000098C4: 7E940B4A
	v_cvt_f32_i32_e32 v75, v75                                 // 0000000098C8: 7E960B4B
	v_mul_f32_e32 v72, v14, v72                                // 0000000098CC: 0A90910E
	v_mul_f32_e32 v73, v14, v73                                // 0000000098D0: 0A92930E
	v_mul_f32_e32 v74, v14, v74                                // 0000000098D4: 0A94950E
	v_mul_f32_e32 v75, v14, v75                                // 0000000098D8: 0A96970E
	v_mul_f32_dpp v72, v49, v72 row_newbcast:4 row_mask:0xf bank_mask:0xf// 0000000098DC: 0A9090FA FF015431
	v_mul_f32_dpp v73, v49, v73 row_newbcast:5 row_mask:0xf bank_mask:0xf// 0000000098E4: 0A9292FA FF015531
	v_mul_f32_dpp v74, v49, v74 row_newbcast:6 row_mask:0xf bank_mask:0xf// 0000000098EC: 0A9494FA FF015631
	v_mul_f32_dpp v75, v49, v75 row_newbcast:7 row_mask:0xf bank_mask:0xf// 0000000098F4: 0A9696FA FF015731
	v_cvt_f32_i32_e32 v76, v76                                 // 0000000098FC: 7E980B4C
	v_cvt_f32_i32_e32 v77, v77                                 // 000000009900: 7E9A0B4D
	v_cvt_f32_i32_e32 v78, v78                                 // 000000009904: 7E9C0B4E
	v_cvt_f32_i32_e32 v79, v79                                 // 000000009908: 7E9E0B4F
	v_mul_f32_e32 v76, v15, v76                                // 00000000990C: 0A98990F
	v_mul_f32_e32 v77, v15, v77                                // 000000009910: 0A9A9B0F
	v_mul_f32_e32 v78, v15, v78                                // 000000009914: 0A9C9D0F
	v_mul_f32_e32 v79, v15, v79                                // 000000009918: 0A9E9F0F
	v_mul_f32_dpp v76, v49, v76 row_newbcast:4 row_mask:0xf bank_mask:0xf// 00000000991C: 0A9898FA FF015431
	v_mul_f32_dpp v77, v49, v77 row_newbcast:5 row_mask:0xf bank_mask:0xf// 000000009924: 0A9A9AFA FF015531
	v_mul_f32_dpp v78, v49, v78 row_newbcast:6 row_mask:0xf bank_mask:0xf// 00000000992C: 0A9C9CFA FF015631
	v_mul_f32_dpp v79, v49, v79 row_newbcast:7 row_mask:0xf bank_mask:0xf// 000000009934: 0A9E9EFA FF015731
	v_cvt_f32_i32_e32 v80, v80                                 // 00000000993C: 7EA00B50
	v_cvt_f32_i32_e32 v81, v81                                 // 000000009940: 7EA20B51
	v_cvt_f32_i32_e32 v82, v82                                 // 000000009944: 7EA40B52
	v_cvt_f32_i32_e32 v83, v83                                 // 000000009948: 7EA60B53
	v_mul_f32_e32 v80, v14, v80                                // 00000000994C: 0AA0A10E
	v_mul_f32_e32 v81, v14, v81                                // 000000009950: 0AA2A30E
	v_mul_f32_e32 v82, v14, v82                                // 000000009954: 0AA4A50E
	v_mul_f32_e32 v83, v14, v83                                // 000000009958: 0AA6A70E
	v_mul_f32_dpp v80, v49, v80 row_newbcast:8 row_mask:0xf bank_mask:0xf// 00000000995C: 0AA0A0FA FF015831
	v_mul_f32_dpp v81, v49, v81 row_newbcast:9 row_mask:0xf bank_mask:0xf// 000000009964: 0AA2A2FA FF015931
	v_mul_f32_dpp v82, v49, v82 row_newbcast:10 row_mask:0xf bank_mask:0xf// 00000000996C: 0AA4A4FA FF015A31
	v_mul_f32_dpp v83, v49, v83 row_newbcast:11 row_mask:0xf bank_mask:0xf// 000000009974: 0AA6A6FA FF015B31
	v_cvt_f32_i32_e32 v84, v84                                 // 00000000997C: 7EA80B54
	v_cvt_f32_i32_e32 v85, v85                                 // 000000009980: 7EAA0B55
	v_cvt_f32_i32_e32 v86, v86                                 // 000000009984: 7EAC0B56
	v_cvt_f32_i32_e32 v87, v87                                 // 000000009988: 7EAE0B57
	v_mul_f32_e32 v84, v15, v84                                // 00000000998C: 0AA8A90F
	v_mul_f32_e32 v85, v15, v85                                // 000000009990: 0AAAAB0F
	v_mul_f32_e32 v86, v15, v86                                // 000000009994: 0AACAD0F
	v_mul_f32_e32 v87, v15, v87                                // 000000009998: 0AAEAF0F
	v_mul_f32_dpp v84, v49, v84 row_newbcast:8 row_mask:0xf bank_mask:0xf// 00000000999C: 0AA8A8FA FF015831
	v_mul_f32_dpp v85, v49, v85 row_newbcast:9 row_mask:0xf bank_mask:0xf// 0000000099A4: 0AAAAAFA FF015931
	v_mul_f32_dpp v86, v49, v86 row_newbcast:10 row_mask:0xf bank_mask:0xf// 0000000099AC: 0AACACFA FF015A31
	v_mul_f32_dpp v87, v49, v87 row_newbcast:11 row_mask:0xf bank_mask:0xf// 0000000099B4: 0AAEAEFA FF015B31
	v_cvt_f32_i32_e32 v88, v88                                 // 0000000099BC: 7EB00B58
	v_cvt_f32_i32_e32 v89, v89                                 // 0000000099C0: 7EB20B59
	v_cvt_f32_i32_e32 v90, v90                                 // 0000000099C4: 7EB40B5A
	v_cvt_f32_i32_e32 v91, v91                                 // 0000000099C8: 7EB60B5B
	v_mul_f32_e32 v88, v14, v88                                // 0000000099CC: 0AB0B10E
	v_mul_f32_e32 v89, v14, v89                                // 0000000099D0: 0AB2B30E
	v_mul_f32_e32 v90, v14, v90                                // 0000000099D4: 0AB4B50E
	v_mul_f32_e32 v91, v14, v91                                // 0000000099D8: 0AB6B70E
	v_mul_f32_dpp v88, v49, v88 row_newbcast:12 row_mask:0xf bank_mask:0xf// 0000000099DC: 0AB0B0FA FF015C31
	v_mul_f32_dpp v89, v49, v89 row_newbcast:13 row_mask:0xf bank_mask:0xf// 0000000099E4: 0AB2B2FA FF015D31
	v_mul_f32_dpp v90, v49, v90 row_newbcast:14 row_mask:0xf bank_mask:0xf// 0000000099EC: 0AB4B4FA FF015E31
	v_mul_f32_dpp v91, v49, v91 row_newbcast:15 row_mask:0xf bank_mask:0xf// 0000000099F4: 0AB6B6FA FF015F31
	v_cvt_f32_i32_e32 v92, v92                                 // 0000000099FC: 7EB80B5C
	v_cvt_f32_i32_e32 v93, v93                                 // 000000009A00: 7EBA0B5D
	v_cvt_f32_i32_e32 v94, v94                                 // 000000009A04: 7EBC0B5E
	v_cvt_f32_i32_e32 v95, v95                                 // 000000009A08: 7EBE0B5F
	v_mul_f32_e32 v92, v15, v92                                // 000000009A0C: 0AB8B90F
	v_mul_f32_e32 v93, v15, v93                                // 000000009A10: 0ABABB0F
	v_mul_f32_e32 v94, v15, v94                                // 000000009A14: 0ABCBD0F
	v_mul_f32_e32 v95, v15, v95                                // 000000009A18: 0ABEBF0F
	v_mul_f32_dpp v92, v49, v92 row_newbcast:12 row_mask:0xf bank_mask:0xf// 000000009A1C: 0AB8B8FA FF015C31
	v_mul_f32_dpp v93, v49, v93 row_newbcast:13 row_mask:0xf bank_mask:0xf// 000000009A24: 0ABABAFA FF015D31
	v_mul_f32_dpp v94, v49, v94 row_newbcast:14 row_mask:0xf bank_mask:0xf// 000000009A2C: 0ABCBCFA FF015E31
	v_mul_f32_dpp v95, v49, v95 row_newbcast:15 row_mask:0xf bank_mask:0xf// 000000009A34: 0ABEBEFA FF015F31
	v_cvt_f32_i32_e32 v96, v96                                 // 000000009A3C: 7EC00B60
	v_cvt_f32_i32_e32 v97, v97                                 // 000000009A40: 7EC20B61
	v_cvt_f32_i32_e32 v98, v98                                 // 000000009A44: 7EC40B62
	v_cvt_f32_i32_e32 v99, v99                                 // 000000009A48: 7EC60B63
	v_mul_f32_e32 v96, v14, v96                                // 000000009A4C: 0AC0C10E
	v_mul_f32_e32 v97, v14, v97                                // 000000009A50: 0AC2C30E
	v_mul_f32_e32 v98, v14, v98                                // 000000009A54: 0AC4C50E
	v_mul_f32_e32 v99, v14, v99                                // 000000009A58: 0AC6C70E
	v_mul_f32_dpp v96, v50, v96 row_newbcast:0 row_mask:0xf bank_mask:0xf// 000000009A5C: 0AC0C0FA FF015032
	v_mul_f32_dpp v97, v50, v97 row_newbcast:1 row_mask:0xf bank_mask:0xf// 000000009A64: 0AC2C2FA FF015132
	v_mul_f32_dpp v98, v50, v98 row_newbcast:2 row_mask:0xf bank_mask:0xf// 000000009A6C: 0AC4C4FA FF015232
	v_mul_f32_dpp v99, v50, v99 row_newbcast:3 row_mask:0xf bank_mask:0xf// 000000009A74: 0AC6C6FA FF015332
	v_cvt_f32_i32_e32 v100, v100                               // 000000009A7C: 7EC80B64
	v_cvt_f32_i32_e32 v101, v101                               // 000000009A80: 7ECA0B65
	v_cvt_f32_i32_e32 v102, v102                               // 000000009A84: 7ECC0B66
	v_cvt_f32_i32_e32 v103, v103                               // 000000009A88: 7ECE0B67
	v_mul_f32_e32 v100, v15, v100                              // 000000009A8C: 0AC8C90F
	v_mul_f32_e32 v101, v15, v101                              // 000000009A90: 0ACACB0F
	v_mul_f32_e32 v102, v15, v102                              // 000000009A94: 0ACCCD0F
	v_mul_f32_e32 v103, v15, v103                              // 000000009A98: 0ACECF0F
	v_mul_f32_dpp v100, v50, v100 row_newbcast:0 row_mask:0xf bank_mask:0xf// 000000009A9C: 0AC8C8FA FF015032
	v_mul_f32_dpp v101, v50, v101 row_newbcast:1 row_mask:0xf bank_mask:0xf// 000000009AA4: 0ACACAFA FF015132
	v_mul_f32_dpp v102, v50, v102 row_newbcast:2 row_mask:0xf bank_mask:0xf// 000000009AAC: 0ACCCCFA FF015232
	v_mul_f32_dpp v103, v50, v103 row_newbcast:3 row_mask:0xf bank_mask:0xf// 000000009AB4: 0ACECEFA FF015332
	v_cvt_f32_i32_e32 v104, v104                               // 000000009ABC: 7ED00B68
	v_cvt_f32_i32_e32 v105, v105                               // 000000009AC0: 7ED20B69
	v_cvt_f32_i32_e32 v106, v106                               // 000000009AC4: 7ED40B6A
	v_cvt_f32_i32_e32 v107, v107                               // 000000009AC8: 7ED60B6B
	v_mul_f32_e32 v104, v14, v104                              // 000000009ACC: 0AD0D10E
	v_mul_f32_e32 v105, v14, v105                              // 000000009AD0: 0AD2D30E
	v_mul_f32_e32 v106, v14, v106                              // 000000009AD4: 0AD4D50E
	v_mul_f32_e32 v107, v14, v107                              // 000000009AD8: 0AD6D70E
	v_mul_f32_dpp v104, v50, v104 row_newbcast:4 row_mask:0xf bank_mask:0xf// 000000009ADC: 0AD0D0FA FF015432
	v_mul_f32_dpp v105, v50, v105 row_newbcast:5 row_mask:0xf bank_mask:0xf// 000000009AE4: 0AD2D2FA FF015532
	v_mul_f32_dpp v106, v50, v106 row_newbcast:6 row_mask:0xf bank_mask:0xf// 000000009AEC: 0AD4D4FA FF015632
	v_mul_f32_dpp v107, v50, v107 row_newbcast:7 row_mask:0xf bank_mask:0xf// 000000009AF4: 0AD6D6FA FF015732
	v_cvt_f32_i32_e32 v108, v108                               // 000000009AFC: 7ED80B6C
	v_cvt_f32_i32_e32 v109, v109                               // 000000009B00: 7EDA0B6D
	v_cvt_f32_i32_e32 v110, v110                               // 000000009B04: 7EDC0B6E
	v_cvt_f32_i32_e32 v111, v111                               // 000000009B08: 7EDE0B6F
	v_mul_f32_e32 v108, v15, v108                              // 000000009B0C: 0AD8D90F
	v_mul_f32_e32 v109, v15, v109                              // 000000009B10: 0ADADB0F
	v_mul_f32_e32 v110, v15, v110                              // 000000009B14: 0ADCDD0F
	v_mul_f32_e32 v111, v15, v111                              // 000000009B18: 0ADEDF0F
	v_mul_f32_dpp v108, v50, v108 row_newbcast:4 row_mask:0xf bank_mask:0xf// 000000009B1C: 0AD8D8FA FF015432
	v_mul_f32_dpp v109, v50, v109 row_newbcast:5 row_mask:0xf bank_mask:0xf// 000000009B24: 0ADADAFA FF015532
	v_mul_f32_dpp v110, v50, v110 row_newbcast:6 row_mask:0xf bank_mask:0xf// 000000009B2C: 0ADCDCFA FF015632
	v_mul_f32_dpp v111, v50, v111 row_newbcast:7 row_mask:0xf bank_mask:0xf// 000000009B34: 0ADEDEFA FF015732
	v_cvt_f32_i32_e32 v112, v112                               // 000000009B3C: 7EE00B70
	v_cvt_f32_i32_e32 v113, v113                               // 000000009B40: 7EE20B71
	v_cvt_f32_i32_e32 v114, v114                               // 000000009B44: 7EE40B72
	v_cvt_f32_i32_e32 v115, v115                               // 000000009B48: 7EE60B73
	v_mul_f32_e32 v112, v14, v112                              // 000000009B4C: 0AE0E10E
	v_mul_f32_e32 v113, v14, v113                              // 000000009B50: 0AE2E30E
	v_mul_f32_e32 v114, v14, v114                              // 000000009B54: 0AE4E50E
	v_mul_f32_e32 v115, v14, v115                              // 000000009B58: 0AE6E70E
	v_mul_f32_dpp v112, v50, v112 row_newbcast:8 row_mask:0xf bank_mask:0xf// 000000009B5C: 0AE0E0FA FF015832
	v_mul_f32_dpp v113, v50, v113 row_newbcast:9 row_mask:0xf bank_mask:0xf// 000000009B64: 0AE2E2FA FF015932
	v_mul_f32_dpp v114, v50, v114 row_newbcast:10 row_mask:0xf bank_mask:0xf// 000000009B6C: 0AE4E4FA FF015A32
	v_mul_f32_dpp v115, v50, v115 row_newbcast:11 row_mask:0xf bank_mask:0xf// 000000009B74: 0AE6E6FA FF015B32
	v_cvt_f32_i32_e32 v116, v116                               // 000000009B7C: 7EE80B74
	v_cvt_f32_i32_e32 v117, v117                               // 000000009B80: 7EEA0B75
	v_cvt_f32_i32_e32 v118, v118                               // 000000009B84: 7EEC0B76
	v_cvt_f32_i32_e32 v119, v119                               // 000000009B88: 7EEE0B77
	v_mul_f32_e32 v116, v15, v116                              // 000000009B8C: 0AE8E90F
	v_mul_f32_e32 v117, v15, v117                              // 000000009B90: 0AEAEB0F
	v_mul_f32_e32 v118, v15, v118                              // 000000009B94: 0AECED0F
	v_mul_f32_e32 v119, v15, v119                              // 000000009B98: 0AEEEF0F
	v_mul_f32_dpp v116, v50, v116 row_newbcast:8 row_mask:0xf bank_mask:0xf// 000000009B9C: 0AE8E8FA FF015832
	v_mul_f32_dpp v117, v50, v117 row_newbcast:9 row_mask:0xf bank_mask:0xf// 000000009BA4: 0AEAEAFA FF015932
	v_mul_f32_dpp v118, v50, v118 row_newbcast:10 row_mask:0xf bank_mask:0xf// 000000009BAC: 0AECECFA FF015A32
	v_mul_f32_dpp v119, v50, v119 row_newbcast:11 row_mask:0xf bank_mask:0xf// 000000009BB4: 0AEEEEFA FF015B32
	s_waitcnt vmcnt(24)                                        // 000000009BBC: BF8C4F78
	buffer_load_dwordx4 a[0:3], v41, s[12:15], 0 offen         // 000000009BC0: E05C1000 80830029
	v_mul_f32_e64 v52, -v128, s6                               // 000000009BC8: D1050034 20000D80
	v_mul_f32_e64 v53, -v129, s6                               // 000000009BD0: D1050035 20000D81
	v_mul_f32_e64 v54, -v130, s6                               // 000000009BD8: D1050036 20000D82
	v_mul_f32_e64 v55, -v131, s6                               // 000000009BE0: D1050037 20000D83
	v_exp_f32_e32 v52, v52                                     // 000000009BE8: 7E684134
	v_exp_f32_e32 v53, v53                                     // 000000009BEC: 7E6A4135
	v_exp_f32_e32 v54, v54                                     // 000000009BF0: 7E6C4136
	v_exp_f32_e32 v55, v55                                     // 000000009BF4: 7E6E4137
	buffer_load_dwordx4 a[4:7], v42, s[12:15], 0 offen         // 000000009BF8: E05C1000 8083042A
	v_add_f32_e64 v52, v52, 1.0                                // 000000009C00: D1010034 0001E534
	v_add_f32_e64 v53, v53, 1.0                                // 000000009C08: D1010035 0001E535
	v_add_f32_e64 v54, v54, 1.0                                // 000000009C10: D1010036 0001E536
	v_add_f32_e64 v55, v55, 1.0                                // 000000009C18: D1010037 0001E537
	v_rcp_f32_e32 v52, v52                                     // 000000009C20: 7E684534
	v_rcp_f32_e32 v53, v53                                     // 000000009C24: 7E6A4535
	v_rcp_f32_e32 v54, v54                                     // 000000009C28: 7E6C4536
	v_rcp_f32_e32 v55, v55                                     // 000000009C2C: 7E6E4537
	v_mul_f32_e32 v128, v128, v52                              // 000000009C30: 0B006980
	v_mul_f32_e32 v129, v129, v53                              // 000000009C34: 0B026B81
	v_mul_f32_e32 v130, v130, v54                              // 000000009C38: 0B046D82
	v_mul_f32_e32 v131, v131, v55                              // 000000009C3C: 0B066F83
	v_mul_f32_e32 v128, v128, v64                              // 000000009C40: 0B008180
	v_mul_f32_e32 v129, v129, v65                              // 000000009C44: 0B028381
	v_mul_f32_e32 v130, v130, v66                              // 000000009C48: 0B048582
	v_mul_f32_e32 v131, v131, v67                              // 000000009C4C: 0B068783
	buffer_load_dwordx4 a[8:11], v43, s[12:15], 0 offen        // 000000009C50: E05C1000 8083082B
	v_mul_f32_e64 v52, -v132, s6                               // 000000009C58: D1050034 20000D84
	v_mul_f32_e64 v53, -v133, s6                               // 000000009C60: D1050035 20000D85
	v_mul_f32_e64 v54, -v134, s6                               // 000000009C68: D1050036 20000D86
	v_mul_f32_e64 v55, -v135, s6                               // 000000009C70: D1050037 20000D87
	v_exp_f32_e32 v52, v52                                     // 000000009C78: 7E684134
	v_exp_f32_e32 v53, v53                                     // 000000009C7C: 7E6A4135
	v_exp_f32_e32 v54, v54                                     // 000000009C80: 7E6C4136
	v_exp_f32_e32 v55, v55                                     // 000000009C84: 7E6E4137
	buffer_load_dwordx4 a[12:15], v44, s[12:15], 0 offen       // 000000009C88: E05C1000 80830C2C
	s_add_u32 s12, s78, s12                                    // 000000009C90: 800C0C4E
	s_addc_u32 s13, 0, s13                                     // 000000009C94: 820D0D80
	v_add_f32_e64 v52, v52, 1.0                                // 000000009C98: D1010034 0001E534
	v_add_f32_e64 v53, v53, 1.0                                // 000000009CA0: D1010035 0001E535
	v_add_f32_e64 v54, v54, 1.0                                // 000000009CA8: D1010036 0001E536
	v_add_f32_e64 v55, v55, 1.0                                // 000000009CB0: D1010037 0001E537
	v_rcp_f32_e32 v52, v52                                     // 000000009CB8: 7E684534
	v_rcp_f32_e32 v53, v53                                     // 000000009CBC: 7E6A4535
	v_rcp_f32_e32 v54, v54                                     // 000000009CC0: 7E6C4536
	v_rcp_f32_e32 v55, v55                                     // 000000009CC4: 7E6E4537
	v_mul_f32_e32 v132, v132, v52                              // 000000009CC8: 0B086984
	v_mul_f32_e32 v133, v133, v53                              // 000000009CCC: 0B0A6B85
	v_mul_f32_e32 v134, v134, v54                              // 000000009CD0: 0B0C6D86
	v_mul_f32_e32 v135, v135, v55                              // 000000009CD4: 0B0E6F87
	v_mul_f32_e32 v132, v132, v68                              // 000000009CD8: 0B088984
	v_mul_f32_e32 v133, v133, v69                              // 000000009CDC: 0B0A8B85
	v_mul_f32_e32 v134, v134, v70                              // 000000009CE0: 0B0C8D86
	v_mul_f32_e32 v135, v135, v71                              // 000000009CE4: 0B0E8F87
	s_waitcnt vmcnt(24)                                        // 000000009CE8: BF8C4F78
	buffer_load_dwordx4 a[16:19], v41, s[12:15], 0 offen       // 000000009CEC: E05C1000 80831029
	v_mul_f32_e64 v52, -v136, s6                               // 000000009CF4: D1050034 20000D88
	v_mul_f32_e64 v53, -v137, s6                               // 000000009CFC: D1050035 20000D89
	v_mul_f32_e64 v54, -v138, s6                               // 000000009D04: D1050036 20000D8A
	v_mul_f32_e64 v55, -v139, s6                               // 000000009D0C: D1050037 20000D8B
	v_exp_f32_e32 v52, v52                                     // 000000009D14: 7E684134
	v_exp_f32_e32 v53, v53                                     // 000000009D18: 7E6A4135
	v_exp_f32_e32 v54, v54                                     // 000000009D1C: 7E6C4136
	v_exp_f32_e32 v55, v55                                     // 000000009D20: 7E6E4137
	buffer_load_dwordx4 a[20:23], v42, s[12:15], 0 offen       // 000000009D24: E05C1000 8083142A
	v_add_f32_e64 v52, v52, 1.0                                // 000000009D2C: D1010034 0001E534
	v_add_f32_e64 v53, v53, 1.0                                // 000000009D34: D1010035 0001E535
	v_add_f32_e64 v54, v54, 1.0                                // 000000009D3C: D1010036 0001E536
	v_add_f32_e64 v55, v55, 1.0                                // 000000009D44: D1010037 0001E537
	v_rcp_f32_e32 v52, v52                                     // 000000009D4C: 7E684534
	v_rcp_f32_e32 v53, v53                                     // 000000009D50: 7E6A4535
	v_rcp_f32_e32 v54, v54                                     // 000000009D54: 7E6C4536
	v_rcp_f32_e32 v55, v55                                     // 000000009D58: 7E6E4537
	v_mul_f32_e32 v136, v136, v52                              // 000000009D5C: 0B106988
	v_mul_f32_e32 v137, v137, v53                              // 000000009D60: 0B126B89
	v_mul_f32_e32 v138, v138, v54                              // 000000009D64: 0B146D8A
	v_mul_f32_e32 v139, v139, v55                              // 000000009D68: 0B166F8B
	v_mul_f32_e32 v136, v136, v72                              // 000000009D6C: 0B109188
	v_mul_f32_e32 v137, v137, v73                              // 000000009D70: 0B129389
	v_mul_f32_e32 v138, v138, v74                              // 000000009D74: 0B14958A
	v_mul_f32_e32 v139, v139, v75                              // 000000009D78: 0B16978B
	buffer_load_dwordx4 a[24:27], v43, s[12:15], 0 offen       // 000000009D7C: E05C1000 8083182B
	v_mul_f32_e64 v52, -v140, s6                               // 000000009D84: D1050034 20000D8C
	v_mul_f32_e64 v53, -v141, s6                               // 000000009D8C: D1050035 20000D8D
	v_mul_f32_e64 v54, -v142, s6                               // 000000009D94: D1050036 20000D8E
	v_mul_f32_e64 v55, -v143, s6                               // 000000009D9C: D1050037 20000D8F
	v_exp_f32_e32 v52, v52                                     // 000000009DA4: 7E684134
	v_exp_f32_e32 v53, v53                                     // 000000009DA8: 7E6A4135
	v_exp_f32_e32 v54, v54                                     // 000000009DAC: 7E6C4136
	v_exp_f32_e32 v55, v55                                     // 000000009DB0: 7E6E4137
	buffer_load_dwordx4 a[28:31], v44, s[12:15], 0 offen       // 000000009DB4: E05C1000 80831C2C
	s_add_u32 s12, s78, s12                                    // 000000009DBC: 800C0C4E
	s_addc_u32 s13, 0, s13                                     // 000000009DC0: 820D0D80
	v_add_f32_e64 v52, v52, 1.0                                // 000000009DC4: D1010034 0001E534
	v_add_f32_e64 v53, v53, 1.0                                // 000000009DCC: D1010035 0001E535
	v_add_f32_e64 v54, v54, 1.0                                // 000000009DD4: D1010036 0001E536
	v_add_f32_e64 v55, v55, 1.0                                // 000000009DDC: D1010037 0001E537
	v_rcp_f32_e32 v52, v52                                     // 000000009DE4: 7E684534
	v_rcp_f32_e32 v53, v53                                     // 000000009DE8: 7E6A4535
	v_rcp_f32_e32 v54, v54                                     // 000000009DEC: 7E6C4536
	v_rcp_f32_e32 v55, v55                                     // 000000009DF0: 7E6E4537
	v_mul_f32_e32 v140, v140, v52                              // 000000009DF4: 0B18698C
	v_mul_f32_e32 v141, v141, v53                              // 000000009DF8: 0B1A6B8D
	v_mul_f32_e32 v142, v142, v54                              // 000000009DFC: 0B1C6D8E
	v_mul_f32_e32 v143, v143, v55                              // 000000009E00: 0B1E6F8F
	v_mul_f32_e32 v140, v140, v76                              // 000000009E04: 0B18998C
	v_mul_f32_e32 v141, v141, v77                              // 000000009E08: 0B1A9B8D
	v_mul_f32_e32 v142, v142, v78                              // 000000009E0C: 0B1C9D8E
	v_mul_f32_e32 v143, v143, v79                              // 000000009E10: 0B1E9F8F
	s_waitcnt vmcnt(24)                                        // 000000009E14: BF8C4F78
	buffer_load_dwordx4 a[32:35], v41, s[12:15], 0 offen       // 000000009E18: E05C1000 80832029
	v_mul_f32_e64 v52, -v144, s6                               // 000000009E20: D1050034 20000D90
	v_mul_f32_e64 v53, -v145, s6                               // 000000009E28: D1050035 20000D91
	v_mul_f32_e64 v54, -v146, s6                               // 000000009E30: D1050036 20000D92
	v_mul_f32_e64 v55, -v147, s6                               // 000000009E38: D1050037 20000D93
	v_exp_f32_e32 v52, v52                                     // 000000009E40: 7E684134
	v_exp_f32_e32 v53, v53                                     // 000000009E44: 7E6A4135
	v_exp_f32_e32 v54, v54                                     // 000000009E48: 7E6C4136
	v_exp_f32_e32 v55, v55                                     // 000000009E4C: 7E6E4137
	buffer_load_dwordx4 a[36:39], v42, s[12:15], 0 offen       // 000000009E50: E05C1000 8083242A
	v_add_f32_e64 v52, v52, 1.0                                // 000000009E58: D1010034 0001E534
	v_add_f32_e64 v53, v53, 1.0                                // 000000009E60: D1010035 0001E535
	v_add_f32_e64 v54, v54, 1.0                                // 000000009E68: D1010036 0001E536
	v_add_f32_e64 v55, v55, 1.0                                // 000000009E70: D1010037 0001E537
	v_rcp_f32_e32 v52, v52                                     // 000000009E78: 7E684534
	v_rcp_f32_e32 v53, v53                                     // 000000009E7C: 7E6A4535
	v_rcp_f32_e32 v54, v54                                     // 000000009E80: 7E6C4536
	v_rcp_f32_e32 v55, v55                                     // 000000009E84: 7E6E4537
	v_mul_f32_e32 v144, v144, v52                              // 000000009E88: 0B206990
	v_mul_f32_e32 v145, v145, v53                              // 000000009E8C: 0B226B91
	v_mul_f32_e32 v146, v146, v54                              // 000000009E90: 0B246D92
	v_mul_f32_e32 v147, v147, v55                              // 000000009E94: 0B266F93
	v_mul_f32_e32 v144, v144, v80                              // 000000009E98: 0B20A190
	v_mul_f32_e32 v145, v145, v81                              // 000000009E9C: 0B22A391
	v_mul_f32_e32 v146, v146, v82                              // 000000009EA0: 0B24A592
	v_mul_f32_e32 v147, v147, v83                              // 000000009EA4: 0B26A793
	buffer_load_dwordx4 a[40:43], v43, s[12:15], 0 offen       // 000000009EA8: E05C1000 8083282B
	v_mul_f32_e64 v52, -v148, s6                               // 000000009EB0: D1050034 20000D94
	v_mul_f32_e64 v53, -v149, s6                               // 000000009EB8: D1050035 20000D95
	v_mul_f32_e64 v54, -v150, s6                               // 000000009EC0: D1050036 20000D96
	v_mul_f32_e64 v55, -v151, s6                               // 000000009EC8: D1050037 20000D97
	v_exp_f32_e32 v52, v52                                     // 000000009ED0: 7E684134
	v_exp_f32_e32 v53, v53                                     // 000000009ED4: 7E6A4135
	v_exp_f32_e32 v54, v54                                     // 000000009ED8: 7E6C4136
	v_exp_f32_e32 v55, v55                                     // 000000009EDC: 7E6E4137
	buffer_load_dwordx4 a[44:47], v44, s[12:15], 0 offen       // 000000009EE0: E05C1000 80832C2C
	s_add_u32 s12, s78, s12                                    // 000000009EE8: 800C0C4E
	s_addc_u32 s13, 0, s13                                     // 000000009EEC: 820D0D80
	v_add_f32_e64 v52, v52, 1.0                                // 000000009EF0: D1010034 0001E534
	v_add_f32_e64 v53, v53, 1.0                                // 000000009EF8: D1010035 0001E535
	v_add_f32_e64 v54, v54, 1.0                                // 000000009F00: D1010036 0001E536
	v_add_f32_e64 v55, v55, 1.0                                // 000000009F08: D1010037 0001E537
	v_rcp_f32_e32 v52, v52                                     // 000000009F10: 7E684534
	v_rcp_f32_e32 v53, v53                                     // 000000009F14: 7E6A4535
	v_rcp_f32_e32 v54, v54                                     // 000000009F18: 7E6C4536
	v_rcp_f32_e32 v55, v55                                     // 000000009F1C: 7E6E4537
	v_mul_f32_e32 v148, v148, v52                              // 000000009F20: 0B286994
	v_mul_f32_e32 v149, v149, v53                              // 000000009F24: 0B2A6B95
	v_mul_f32_e32 v150, v150, v54                              // 000000009F28: 0B2C6D96
	v_mul_f32_e32 v151, v151, v55                              // 000000009F2C: 0B2E6F97
	v_mul_f32_e32 v148, v148, v84                              // 000000009F30: 0B28A994
	v_mul_f32_e32 v149, v149, v85                              // 000000009F34: 0B2AAB95
	v_mul_f32_e32 v150, v150, v86                              // 000000009F38: 0B2CAD96
	v_mul_f32_e32 v151, v151, v87                              // 000000009F3C: 0B2EAF97
	s_waitcnt vmcnt(24)                                        // 000000009F40: BF8C4F78
	buffer_load_dwordx4 a[48:51], v41, s[12:15], 0 offen       // 000000009F44: E05C1000 80833029
	v_mul_f32_e64 v52, -v152, s6                               // 000000009F4C: D1050034 20000D98
	v_mul_f32_e64 v53, -v153, s6                               // 000000009F54: D1050035 20000D99
	v_mul_f32_e64 v54, -v154, s6                               // 000000009F5C: D1050036 20000D9A
	v_mul_f32_e64 v55, -v155, s6                               // 000000009F64: D1050037 20000D9B
	v_exp_f32_e32 v52, v52                                     // 000000009F6C: 7E684134
	v_exp_f32_e32 v53, v53                                     // 000000009F70: 7E6A4135
	v_exp_f32_e32 v54, v54                                     // 000000009F74: 7E6C4136
	v_exp_f32_e32 v55, v55                                     // 000000009F78: 7E6E4137
	buffer_load_dwordx4 a[52:55], v42, s[12:15], 0 offen       // 000000009F7C: E05C1000 8083342A
	v_add_f32_e64 v52, v52, 1.0                                // 000000009F84: D1010034 0001E534
	v_add_f32_e64 v53, v53, 1.0                                // 000000009F8C: D1010035 0001E535
	v_add_f32_e64 v54, v54, 1.0                                // 000000009F94: D1010036 0001E536
	v_add_f32_e64 v55, v55, 1.0                                // 000000009F9C: D1010037 0001E537
	v_rcp_f32_e32 v52, v52                                     // 000000009FA4: 7E684534
	v_rcp_f32_e32 v53, v53                                     // 000000009FA8: 7E6A4535
	v_rcp_f32_e32 v54, v54                                     // 000000009FAC: 7E6C4536
	v_rcp_f32_e32 v55, v55                                     // 000000009FB0: 7E6E4537
	v_mul_f32_e32 v152, v152, v52                              // 000000009FB4: 0B306998
	v_mul_f32_e32 v153, v153, v53                              // 000000009FB8: 0B326B99
	v_mul_f32_e32 v154, v154, v54                              // 000000009FBC: 0B346D9A
	v_mul_f32_e32 v155, v155, v55                              // 000000009FC0: 0B366F9B
	v_mul_f32_e32 v152, v152, v88                              // 000000009FC4: 0B30B198
	v_mul_f32_e32 v153, v153, v89                              // 000000009FC8: 0B32B399
	v_mul_f32_e32 v154, v154, v90                              // 000000009FCC: 0B34B59A
	v_mul_f32_e32 v155, v155, v91                              // 000000009FD0: 0B36B79B
	buffer_load_dwordx4 a[56:59], v43, s[12:15], 0 offen       // 000000009FD4: E05C1000 8083382B
	v_mul_f32_e64 v52, -v156, s6                               // 000000009FDC: D1050034 20000D9C
	v_mul_f32_e64 v53, -v157, s6                               // 000000009FE4: D1050035 20000D9D
	v_mul_f32_e64 v54, -v158, s6                               // 000000009FEC: D1050036 20000D9E
	v_mul_f32_e64 v55, -v159, s6                               // 000000009FF4: D1050037 20000D9F
	v_exp_f32_e32 v52, v52                                     // 000000009FFC: 7E684134
	v_exp_f32_e32 v53, v53                                     // 00000000A000: 7E6A4135
	v_exp_f32_e32 v54, v54                                     // 00000000A004: 7E6C4136
	v_exp_f32_e32 v55, v55                                     // 00000000A008: 7E6E4137
	buffer_load_dwordx4 a[60:63], v44, s[12:15], 0 offen       // 00000000A00C: E05C1000 80833C2C
	s_add_u32 s12, s78, s12                                    // 00000000A014: 800C0C4E
	s_addc_u32 s13, 0, s13                                     // 00000000A018: 820D0D80
	v_add_f32_e64 v52, v52, 1.0                                // 00000000A01C: D1010034 0001E534
	v_add_f32_e64 v53, v53, 1.0                                // 00000000A024: D1010035 0001E535
	v_add_f32_e64 v54, v54, 1.0                                // 00000000A02C: D1010036 0001E536
	v_add_f32_e64 v55, v55, 1.0                                // 00000000A034: D1010037 0001E537
	v_rcp_f32_e32 v52, v52                                     // 00000000A03C: 7E684534
	v_rcp_f32_e32 v53, v53                                     // 00000000A040: 7E6A4535
	v_rcp_f32_e32 v54, v54                                     // 00000000A044: 7E6C4536
	v_rcp_f32_e32 v55, v55                                     // 00000000A048: 7E6E4537
	v_mul_f32_e32 v156, v156, v52                              // 00000000A04C: 0B38699C
	v_mul_f32_e32 v157, v157, v53                              // 00000000A050: 0B3A6B9D
	v_mul_f32_e32 v158, v158, v54                              // 00000000A054: 0B3C6D9E
	v_mul_f32_e32 v159, v159, v55                              // 00000000A058: 0B3E6F9F
	v_mul_f32_e32 v156, v156, v92                              // 00000000A05C: 0B38B99C
	v_mul_f32_e32 v157, v157, v93                              // 00000000A060: 0B3ABB9D
	v_mul_f32_e32 v158, v158, v94                              // 00000000A064: 0B3CBD9E
	v_mul_f32_e32 v159, v159, v95                              // 00000000A068: 0B3EBF9F
	s_waitcnt vmcnt(24)                                        // 00000000A06C: BF8C4F78
	buffer_load_dwordx4 a[64:67], v41, s[12:15], 0 offen       // 00000000A070: E05C1000 80834029
	v_mul_f32_e64 v52, -v160, s6                               // 00000000A078: D1050034 20000DA0
	v_mul_f32_e64 v53, -v161, s6                               // 00000000A080: D1050035 20000DA1
	v_mul_f32_e64 v54, -v162, s6                               // 00000000A088: D1050036 20000DA2
	v_mul_f32_e64 v55, -v163, s6                               // 00000000A090: D1050037 20000DA3
	v_exp_f32_e32 v52, v52                                     // 00000000A098: 7E684134
	v_exp_f32_e32 v53, v53                                     // 00000000A09C: 7E6A4135
	v_exp_f32_e32 v54, v54                                     // 00000000A0A0: 7E6C4136
	v_exp_f32_e32 v55, v55                                     // 00000000A0A4: 7E6E4137
	buffer_load_dwordx4 a[68:71], v42, s[12:15], 0 offen       // 00000000A0A8: E05C1000 8083442A
	v_add_f32_e64 v52, v52, 1.0                                // 00000000A0B0: D1010034 0001E534
	v_add_f32_e64 v53, v53, 1.0                                // 00000000A0B8: D1010035 0001E535
	v_add_f32_e64 v54, v54, 1.0                                // 00000000A0C0: D1010036 0001E536
	v_add_f32_e64 v55, v55, 1.0                                // 00000000A0C8: D1010037 0001E537
	v_rcp_f32_e32 v52, v52                                     // 00000000A0D0: 7E684534
	v_rcp_f32_e32 v53, v53                                     // 00000000A0D4: 7E6A4535
	v_rcp_f32_e32 v54, v54                                     // 00000000A0D8: 7E6C4536
	v_rcp_f32_e32 v55, v55                                     // 00000000A0DC: 7E6E4537
	v_mul_f32_e32 v160, v160, v52                              // 00000000A0E0: 0B4069A0
	v_mul_f32_e32 v161, v161, v53                              // 00000000A0E4: 0B426BA1
	v_mul_f32_e32 v162, v162, v54                              // 00000000A0E8: 0B446DA2
	v_mul_f32_e32 v163, v163, v55                              // 00000000A0EC: 0B466FA3
	v_mul_f32_e32 v160, v160, v96                              // 00000000A0F0: 0B40C1A0
	v_mul_f32_e32 v161, v161, v97                              // 00000000A0F4: 0B42C3A1
	v_mul_f32_e32 v162, v162, v98                              // 00000000A0F8: 0B44C5A2
	v_mul_f32_e32 v163, v163, v99                              // 00000000A0FC: 0B46C7A3
	buffer_load_dwordx4 a[72:75], v43, s[12:15], 0 offen       // 00000000A100: E05C1000 8083482B
	v_mul_f32_e64 v52, -v164, s6                               // 00000000A108: D1050034 20000DA4
	v_mul_f32_e64 v53, -v165, s6                               // 00000000A110: D1050035 20000DA5
	v_mul_f32_e64 v54, -v166, s6                               // 00000000A118: D1050036 20000DA6
	v_mul_f32_e64 v55, -v167, s6                               // 00000000A120: D1050037 20000DA7
	v_exp_f32_e32 v52, v52                                     // 00000000A128: 7E684134
	v_exp_f32_e32 v53, v53                                     // 00000000A12C: 7E6A4135
	v_exp_f32_e32 v54, v54                                     // 00000000A130: 7E6C4136
	v_exp_f32_e32 v55, v55                                     // 00000000A134: 7E6E4137
	buffer_load_dwordx4 a[76:79], v44, s[12:15], 0 offen       // 00000000A138: E05C1000 80834C2C
	s_add_u32 s12, s78, s12                                    // 00000000A140: 800C0C4E
	s_addc_u32 s13, 0, s13                                     // 00000000A144: 820D0D80
	v_add_f32_e64 v52, v52, 1.0                                // 00000000A148: D1010034 0001E534
	v_add_f32_e64 v53, v53, 1.0                                // 00000000A150: D1010035 0001E535
	v_add_f32_e64 v54, v54, 1.0                                // 00000000A158: D1010036 0001E536
	v_add_f32_e64 v55, v55, 1.0                                // 00000000A160: D1010037 0001E537
	v_rcp_f32_e32 v52, v52                                     // 00000000A168: 7E684534
	v_rcp_f32_e32 v53, v53                                     // 00000000A16C: 7E6A4535
	v_rcp_f32_e32 v54, v54                                     // 00000000A170: 7E6C4536
	v_rcp_f32_e32 v55, v55                                     // 00000000A174: 7E6E4537
	v_mul_f32_e32 v164, v164, v52                              // 00000000A178: 0B4869A4
	v_mul_f32_e32 v165, v165, v53                              // 00000000A17C: 0B4A6BA5
	v_mul_f32_e32 v166, v166, v54                              // 00000000A180: 0B4C6DA6
	v_mul_f32_e32 v167, v167, v55                              // 00000000A184: 0B4E6FA7
	v_mul_f32_e32 v164, v164, v100                             // 00000000A188: 0B48C9A4
	v_mul_f32_e32 v165, v165, v101                             // 00000000A18C: 0B4ACBA5
	v_mul_f32_e32 v166, v166, v102                             // 00000000A190: 0B4CCDA6
	v_mul_f32_e32 v167, v167, v103                             // 00000000A194: 0B4ECFA7
	s_waitcnt vmcnt(24)                                        // 00000000A198: BF8C4F78
	buffer_load_dwordx4 a[80:83], v41, s[12:15], 0 offen       // 00000000A19C: E05C1000 80835029
	v_mul_f32_e64 v52, -v168, s6                               // 00000000A1A4: D1050034 20000DA8
	v_mul_f32_e64 v53, -v169, s6                               // 00000000A1AC: D1050035 20000DA9
	v_mul_f32_e64 v54, -v170, s6                               // 00000000A1B4: D1050036 20000DAA
	v_mul_f32_e64 v55, -v171, s6                               // 00000000A1BC: D1050037 20000DAB
	v_exp_f32_e32 v52, v52                                     // 00000000A1C4: 7E684134
	v_exp_f32_e32 v53, v53                                     // 00000000A1C8: 7E6A4135
	v_exp_f32_e32 v54, v54                                     // 00000000A1CC: 7E6C4136
	v_exp_f32_e32 v55, v55                                     // 00000000A1D0: 7E6E4137
	buffer_load_dwordx4 a[84:87], v42, s[12:15], 0 offen       // 00000000A1D4: E05C1000 8083542A
	v_add_f32_e64 v52, v52, 1.0                                // 00000000A1DC: D1010034 0001E534
	v_add_f32_e64 v53, v53, 1.0                                // 00000000A1E4: D1010035 0001E535
	v_add_f32_e64 v54, v54, 1.0                                // 00000000A1EC: D1010036 0001E536
	v_add_f32_e64 v55, v55, 1.0                                // 00000000A1F4: D1010037 0001E537
	v_rcp_f32_e32 v52, v52                                     // 00000000A1FC: 7E684534
	v_rcp_f32_e32 v53, v53                                     // 00000000A200: 7E6A4535
	v_rcp_f32_e32 v54, v54                                     // 00000000A204: 7E6C4536
	v_rcp_f32_e32 v55, v55                                     // 00000000A208: 7E6E4537
	v_mul_f32_e32 v168, v168, v52                              // 00000000A20C: 0B5069A8
	v_mul_f32_e32 v169, v169, v53                              // 00000000A210: 0B526BA9
	v_mul_f32_e32 v170, v170, v54                              // 00000000A214: 0B546DAA
	v_mul_f32_e32 v171, v171, v55                              // 00000000A218: 0B566FAB
	v_mul_f32_e32 v168, v168, v104                             // 00000000A21C: 0B50D1A8
	v_mul_f32_e32 v169, v169, v105                             // 00000000A220: 0B52D3A9
	v_mul_f32_e32 v170, v170, v106                             // 00000000A224: 0B54D5AA
	v_mul_f32_e32 v171, v171, v107                             // 00000000A228: 0B56D7AB
	buffer_load_dwordx4 a[88:91], v43, s[12:15], 0 offen       // 00000000A22C: E05C1000 8083582B
	v_mul_f32_e64 v52, -v172, s6                               // 00000000A234: D1050034 20000DAC
	v_mul_f32_e64 v53, -v173, s6                               // 00000000A23C: D1050035 20000DAD
	v_mul_f32_e64 v54, -v174, s6                               // 00000000A244: D1050036 20000DAE
	v_mul_f32_e64 v55, -v175, s6                               // 00000000A24C: D1050037 20000DAF
	v_exp_f32_e32 v52, v52                                     // 00000000A254: 7E684134
	v_exp_f32_e32 v53, v53                                     // 00000000A258: 7E6A4135
	v_exp_f32_e32 v54, v54                                     // 00000000A25C: 7E6C4136
	v_exp_f32_e32 v55, v55                                     // 00000000A260: 7E6E4137
	buffer_load_dwordx4 a[92:95], v44, s[12:15], 0 offen       // 00000000A264: E05C1000 80835C2C
	s_add_u32 s12, s78, s12                                    // 00000000A26C: 800C0C4E
	s_addc_u32 s13, 0, s13                                     // 00000000A270: 820D0D80
	v_add_f32_e64 v52, v52, 1.0                                // 00000000A274: D1010034 0001E534
	v_add_f32_e64 v53, v53, 1.0                                // 00000000A27C: D1010035 0001E535
	v_add_f32_e64 v54, v54, 1.0                                // 00000000A284: D1010036 0001E536
	v_add_f32_e64 v55, v55, 1.0                                // 00000000A28C: D1010037 0001E537
	v_rcp_f32_e32 v52, v52                                     // 00000000A294: 7E684534
	v_rcp_f32_e32 v53, v53                                     // 00000000A298: 7E6A4535
	v_rcp_f32_e32 v54, v54                                     // 00000000A29C: 7E6C4536
	v_rcp_f32_e32 v55, v55                                     // 00000000A2A0: 7E6E4537
	v_mul_f32_e32 v172, v172, v52                              // 00000000A2A4: 0B5869AC
	v_mul_f32_e32 v173, v173, v53                              // 00000000A2A8: 0B5A6BAD
	v_mul_f32_e32 v174, v174, v54                              // 00000000A2AC: 0B5C6DAE
	v_mul_f32_e32 v175, v175, v55                              // 00000000A2B0: 0B5E6FAF
	v_mul_f32_e32 v172, v172, v108                             // 00000000A2B4: 0B58D9AC
	v_mul_f32_e32 v173, v173, v109                             // 00000000A2B8: 0B5ADBAD
	v_mul_f32_e32 v174, v174, v110                             // 00000000A2BC: 0B5CDDAE
	v_mul_f32_e32 v175, v175, v111                             // 00000000A2C0: 0B5EDFAF
	s_waitcnt vmcnt(24)                                        // 00000000A2C4: BF8C4F78
	buffer_load_dwordx4 a[96:99], v41, s[12:15], 0 offen       // 00000000A2C8: E05C1000 80836029
	v_mul_f32_e64 v52, -v176, s6                               // 00000000A2D0: D1050034 20000DB0
	v_mul_f32_e64 v53, -v177, s6                               // 00000000A2D8: D1050035 20000DB1
	v_mul_f32_e64 v54, -v178, s6                               // 00000000A2E0: D1050036 20000DB2
	v_mul_f32_e64 v55, -v179, s6                               // 00000000A2E8: D1050037 20000DB3
	v_exp_f32_e32 v52, v52                                     // 00000000A2F0: 7E684134
	v_exp_f32_e32 v53, v53                                     // 00000000A2F4: 7E6A4135
	v_exp_f32_e32 v54, v54                                     // 00000000A2F8: 7E6C4136
	v_exp_f32_e32 v55, v55                                     // 00000000A2FC: 7E6E4137
	buffer_load_dwordx4 a[100:103], v42, s[12:15], 0 offen     // 00000000A300: E05C1000 8083642A
	v_add_f32_e64 v52, v52, 1.0                                // 00000000A308: D1010034 0001E534
	v_add_f32_e64 v53, v53, 1.0                                // 00000000A310: D1010035 0001E535
	v_add_f32_e64 v54, v54, 1.0                                // 00000000A318: D1010036 0001E536
	v_add_f32_e64 v55, v55, 1.0                                // 00000000A320: D1010037 0001E537
	v_rcp_f32_e32 v52, v52                                     // 00000000A328: 7E684534
	v_rcp_f32_e32 v53, v53                                     // 00000000A32C: 7E6A4535
	v_rcp_f32_e32 v54, v54                                     // 00000000A330: 7E6C4536
	v_rcp_f32_e32 v55, v55                                     // 00000000A334: 7E6E4537
	v_mul_f32_e32 v176, v176, v52                              // 00000000A338: 0B6069B0
	v_mul_f32_e32 v177, v177, v53                              // 00000000A33C: 0B626BB1
	v_mul_f32_e32 v178, v178, v54                              // 00000000A340: 0B646DB2
	v_mul_f32_e32 v179, v179, v55                              // 00000000A344: 0B666FB3
	v_mul_f32_e32 v176, v176, v112                             // 00000000A348: 0B60E1B0
	v_mul_f32_e32 v177, v177, v113                             // 00000000A34C: 0B62E3B1
	v_mul_f32_e32 v178, v178, v114                             // 00000000A350: 0B64E5B2
	v_mul_f32_e32 v179, v179, v115                             // 00000000A354: 0B66E7B3
	buffer_load_dwordx4 a[104:107], v43, s[12:15], 0 offen     // 00000000A358: E05C1000 8083682B
	v_mul_f32_e64 v52, -v180, s6                               // 00000000A360: D1050034 20000DB4
	v_mul_f32_e64 v53, -v181, s6                               // 00000000A368: D1050035 20000DB5
	v_mul_f32_e64 v54, -v182, s6                               // 00000000A370: D1050036 20000DB6
	v_mul_f32_e64 v55, -v183, s6                               // 00000000A378: D1050037 20000DB7
	v_exp_f32_e32 v52, v52                                     // 00000000A380: 7E684134
	v_exp_f32_e32 v53, v53                                     // 00000000A384: 7E6A4135
	v_exp_f32_e32 v54, v54                                     // 00000000A388: 7E6C4136
	v_exp_f32_e32 v55, v55                                     // 00000000A38C: 7E6E4137
	buffer_load_dwordx4 a[108:111], v44, s[12:15], 0 offen     // 00000000A390: E05C1000 80836C2C
	v_add_f32_e64 v52, v52, 1.0                                // 00000000A398: D1010034 0001E534
	v_add_f32_e64 v53, v53, 1.0                                // 00000000A3A0: D1010035 0001E535
	v_add_f32_e64 v54, v54, 1.0                                // 00000000A3A8: D1010036 0001E536
	v_add_f32_e64 v55, v55, 1.0                                // 00000000A3B0: D1010037 0001E537
	v_rcp_f32_e32 v52, v52                                     // 00000000A3B8: 7E684534
	v_rcp_f32_e32 v53, v53                                     // 00000000A3BC: 7E6A4535
	v_rcp_f32_e32 v54, v54                                     // 00000000A3C0: 7E6C4536
	v_rcp_f32_e32 v55, v55                                     // 00000000A3C4: 7E6E4537
	v_mul_f32_e32 v180, v180, v52                              // 00000000A3C8: 0B6869B4
	v_mul_f32_e32 v181, v181, v53                              // 00000000A3CC: 0B6A6BB5
	v_mul_f32_e32 v182, v182, v54                              // 00000000A3D0: 0B6C6DB6
	v_mul_f32_e32 v183, v183, v55                              // 00000000A3D4: 0B6E6FB7
	v_mul_f32_e32 v180, v180, v116                             // 00000000A3D8: 0B68E9B4
	v_mul_f32_e32 v181, v181, v117                             // 00000000A3DC: 0B6AEBB5
	v_mul_f32_e32 v182, v182, v118                             // 00000000A3E0: 0B6CEDB6
	v_mul_f32_e32 v183, v183, v119                             // 00000000A3E4: 0B6EEFB7
	v_mul_f32_dpp v128, v18, v128 row_newbcast:0 row_mask:0xf bank_mask:0xf// 00000000A3E8: 0B0100FA FF015012
	v_mul_f32_dpp v129, v18, v129 row_newbcast:1 row_mask:0xf bank_mask:0xf// 00000000A3F0: 0B0302FA FF015112
	v_mul_f32_dpp v130, v18, v130 row_newbcast:2 row_mask:0xf bank_mask:0xf// 00000000A3F8: 0B0504FA FF015212
	v_mul_f32_dpp v131, v18, v131 row_newbcast:3 row_mask:0xf bank_mask:0xf// 00000000A400: 0B0706FA FF015312
	v_mul_f32_dpp v132, v18, v132 row_newbcast:0 row_mask:0xf bank_mask:0xf// 00000000A408: 0B0908FA FF015012
	v_mul_f32_dpp v133, v18, v133 row_newbcast:1 row_mask:0xf bank_mask:0xf// 00000000A410: 0B0B0AFA FF015112
	v_mul_f32_dpp v134, v18, v134 row_newbcast:2 row_mask:0xf bank_mask:0xf// 00000000A418: 0B0D0CFA FF015212
	v_mul_f32_dpp v135, v18, v135 row_newbcast:3 row_mask:0xf bank_mask:0xf// 00000000A420: 0B0F0EFA FF015312
	v_mul_f32_dpp v136, v18, v136 row_newbcast:4 row_mask:0xf bank_mask:0xf// 00000000A428: 0B1110FA FF015412
	v_mul_f32_dpp v137, v18, v137 row_newbcast:5 row_mask:0xf bank_mask:0xf// 00000000A430: 0B1312FA FF015512
	v_mul_f32_dpp v138, v18, v138 row_newbcast:6 row_mask:0xf bank_mask:0xf// 00000000A438: 0B1514FA FF015612
	v_mul_f32_dpp v139, v18, v139 row_newbcast:7 row_mask:0xf bank_mask:0xf// 00000000A440: 0B1716FA FF015712
	v_mul_f32_dpp v140, v18, v140 row_newbcast:4 row_mask:0xf bank_mask:0xf// 00000000A448: 0B1918FA FF015412
	v_mul_f32_dpp v141, v18, v141 row_newbcast:5 row_mask:0xf bank_mask:0xf// 00000000A450: 0B1B1AFA FF015512
	v_mul_f32_dpp v142, v18, v142 row_newbcast:6 row_mask:0xf bank_mask:0xf// 00000000A458: 0B1D1CFA FF015612
	v_mul_f32_dpp v143, v18, v143 row_newbcast:7 row_mask:0xf bank_mask:0xf// 00000000A460: 0B1F1EFA FF015712
	v_mul_f32_dpp v144, v18, v144 row_newbcast:8 row_mask:0xf bank_mask:0xf// 00000000A468: 0B2120FA FF015812
	v_mul_f32_dpp v145, v18, v145 row_newbcast:9 row_mask:0xf bank_mask:0xf// 00000000A470: 0B2322FA FF015912
	v_mul_f32_dpp v146, v18, v146 row_newbcast:10 row_mask:0xf bank_mask:0xf// 00000000A478: 0B2524FA FF015A12
	v_mul_f32_dpp v147, v18, v147 row_newbcast:11 row_mask:0xf bank_mask:0xf// 00000000A480: 0B2726FA FF015B12
	v_mul_f32_dpp v148, v18, v148 row_newbcast:8 row_mask:0xf bank_mask:0xf// 00000000A488: 0B2928FA FF015812
	v_mul_f32_dpp v149, v18, v149 row_newbcast:9 row_mask:0xf bank_mask:0xf// 00000000A490: 0B2B2AFA FF015912
	v_mul_f32_dpp v150, v18, v150 row_newbcast:10 row_mask:0xf bank_mask:0xf// 00000000A498: 0B2D2CFA FF015A12
	v_mul_f32_dpp v151, v18, v151 row_newbcast:11 row_mask:0xf bank_mask:0xf// 00000000A4A0: 0B2F2EFA FF015B12
	v_mul_f32_dpp v152, v18, v152 row_newbcast:12 row_mask:0xf bank_mask:0xf// 00000000A4A8: 0B3130FA FF015C12
	v_mul_f32_dpp v153, v18, v153 row_newbcast:13 row_mask:0xf bank_mask:0xf// 00000000A4B0: 0B3332FA FF015D12
	v_mul_f32_dpp v154, v18, v154 row_newbcast:14 row_mask:0xf bank_mask:0xf// 00000000A4B8: 0B3534FA FF015E12
	v_mul_f32_dpp v155, v18, v155 row_newbcast:15 row_mask:0xf bank_mask:0xf// 00000000A4C0: 0B3736FA FF015F12
	v_mul_f32_dpp v156, v18, v156 row_newbcast:12 row_mask:0xf bank_mask:0xf// 00000000A4C8: 0B3938FA FF015C12
	v_mul_f32_dpp v157, v18, v157 row_newbcast:13 row_mask:0xf bank_mask:0xf// 00000000A4D0: 0B3B3AFA FF015D12
	v_mul_f32_dpp v158, v18, v158 row_newbcast:14 row_mask:0xf bank_mask:0xf// 00000000A4D8: 0B3D3CFA FF015E12
	v_mul_f32_dpp v159, v18, v159 row_newbcast:15 row_mask:0xf bank_mask:0xf// 00000000A4E0: 0B3F3EFA FF015F12
	v_mul_f32_dpp v160, v19, v160 row_newbcast:0 row_mask:0xf bank_mask:0xf// 00000000A4E8: 0B4140FA FF015013
	v_mul_f32_dpp v161, v19, v161 row_newbcast:1 row_mask:0xf bank_mask:0xf// 00000000A4F0: 0B4342FA FF015113
	v_mul_f32_dpp v162, v19, v162 row_newbcast:2 row_mask:0xf bank_mask:0xf// 00000000A4F8: 0B4544FA FF015213
	v_mul_f32_dpp v163, v19, v163 row_newbcast:3 row_mask:0xf bank_mask:0xf// 00000000A500: 0B4746FA FF015313
	v_mul_f32_dpp v164, v19, v164 row_newbcast:0 row_mask:0xf bank_mask:0xf// 00000000A508: 0B4948FA FF015013
	v_mul_f32_dpp v165, v19, v165 row_newbcast:1 row_mask:0xf bank_mask:0xf// 00000000A510: 0B4B4AFA FF015113
	v_mul_f32_dpp v166, v19, v166 row_newbcast:2 row_mask:0xf bank_mask:0xf// 00000000A518: 0B4D4CFA FF015213
	v_mul_f32_dpp v167, v19, v167 row_newbcast:3 row_mask:0xf bank_mask:0xf// 00000000A520: 0B4F4EFA FF015313
	v_mul_f32_dpp v168, v19, v168 row_newbcast:4 row_mask:0xf bank_mask:0xf// 00000000A528: 0B5150FA FF015413
	v_mul_f32_dpp v169, v19, v169 row_newbcast:5 row_mask:0xf bank_mask:0xf// 00000000A530: 0B5352FA FF015513
	v_mul_f32_dpp v170, v19, v170 row_newbcast:6 row_mask:0xf bank_mask:0xf// 00000000A538: 0B5554FA FF015613
	v_mul_f32_dpp v171, v19, v171 row_newbcast:7 row_mask:0xf bank_mask:0xf// 00000000A540: 0B5756FA FF015713
	v_mul_f32_dpp v172, v19, v172 row_newbcast:4 row_mask:0xf bank_mask:0xf// 00000000A548: 0B5958FA FF015413
	v_mul_f32_dpp v173, v19, v173 row_newbcast:5 row_mask:0xf bank_mask:0xf// 00000000A550: 0B5B5AFA FF015513
	v_mul_f32_dpp v174, v19, v174 row_newbcast:6 row_mask:0xf bank_mask:0xf// 00000000A558: 0B5D5CFA FF015613
	v_mul_f32_dpp v175, v19, v175 row_newbcast:7 row_mask:0xf bank_mask:0xf// 00000000A560: 0B5F5EFA FF015713
	v_mul_f32_dpp v176, v19, v176 row_newbcast:8 row_mask:0xf bank_mask:0xf// 00000000A568: 0B6160FA FF015813
	v_mul_f32_dpp v177, v19, v177 row_newbcast:9 row_mask:0xf bank_mask:0xf// 00000000A570: 0B6362FA FF015913
	v_mul_f32_dpp v178, v19, v178 row_newbcast:10 row_mask:0xf bank_mask:0xf// 00000000A578: 0B6564FA FF015A13
	v_mul_f32_dpp v179, v19, v179 row_newbcast:11 row_mask:0xf bank_mask:0xf// 00000000A580: 0B6766FA FF015B13
	v_mul_f32_dpp v180, v19, v180 row_newbcast:8 row_mask:0xf bank_mask:0xf// 00000000A588: 0B6968FA FF015813
	v_mul_f32_dpp v181, v19, v181 row_newbcast:9 row_mask:0xf bank_mask:0xf// 00000000A590: 0B6B6AFA FF015913
	v_mul_f32_dpp v182, v19, v182 row_newbcast:10 row_mask:0xf bank_mask:0xf// 00000000A598: 0B6D6CFA FF015A13
	v_mul_f32_dpp v183, v19, v183 row_newbcast:11 row_mask:0xf bank_mask:0xf// 00000000A5A0: 0B6F6EFA FF015B13
	v_lshlrev_b32_e32 v52, 2, v0                               // 00000000A5A8: 24680082
	s_mul_i32 s60, s82, s71                                    // 00000000A5AC: 923C4752
	v_add_u32_e64 v80, v52, s60                                // 00000000A5B0: D1340050 00007934
	v_mov_b32_e32 v81, 0                                       // 00000000A5B8: 7EA20280
	s_mul_i32 s60, s83, s71                                    // 00000000A5BC: 923C4753
	v_add_u32_e64 v82, v52, s60                                // 00000000A5C0: D1340052 00007934
	v_mov_b32_e32 v83, 0                                       // 00000000A5C8: 7EA60280
	s_mul_i32 s60, s84, s71                                    // 00000000A5CC: 923C4754
	v_add_u32_e64 v84, v52, s60                                // 00000000A5D0: D1340054 00007934
	v_mov_b32_e32 v85, 0                                       // 00000000A5D8: 7EAA0280
	s_mul_i32 s60, s85, s71                                    // 00000000A5DC: 923C4755
	v_add_u32_e64 v86, v52, s60                                // 00000000A5E0: D1340056 00007934
	v_mov_b32_e32 v87, 0                                       // 00000000A5E8: 7EAE0280
	s_mul_i32 s60, s86, s71                                    // 00000000A5EC: 923C4756
	v_add_u32_e64 v88, v52, s60                                // 00000000A5F0: D1340058 00007934
	v_mov_b32_e32 v89, 0                                       // 00000000A5F8: 7EB20280
	s_mul_i32 s60, s87, s71                                    // 00000000A5FC: 923C4757
	v_add_u32_e64 v90, v52, s60                                // 00000000A600: D134005A 00007934
	v_mov_b32_e32 v91, 0                                       // 00000000A608: 7EB60280
	s_mul_i32 s60, s88, s71                                    // 00000000A60C: 923C4758
	v_add_u32_e64 v92, v52, s60                                // 00000000A610: D134005C 00007934
	v_mov_b32_e32 v93, 0                                       // 00000000A618: 7EBA0280
	s_mul_i32 s60, s89, s71                                    // 00000000A61C: 923C4759
	v_add_u32_e64 v94, v52, s60                                // 00000000A620: D134005E 00007934
	v_mov_b32_e32 v95, 0                                       // 00000000A628: 7EBE0280
	buffer_load_dword v12, v5, s[16:19], 0 offen               // 00000000A62C: E0501000 80040C05
	v_mov_b32_e32 v22, 0x358637bd                              // 00000000A634: 7E2C02FF 358637BD
	v_mov_b32_e32 v23, 0x358637bd                              // 00000000A63C: 7E2E02FF 358637BD
	v_max3_f32 v22, |v128|, |v129|, v22                        // 00000000A644: D1D30316 045B0380
	v_max3_f32 v22, |v130|, |v131|, v22                        // 00000000A64C: D1D30316 045B0782
	v_max3_f32 v23, |v132|, |v133|, v23                        // 00000000A654: D1D30317 045F0B84
	v_max3_f32 v23, |v134|, |v135|, v23                        // 00000000A65C: D1D30317 045F0F86
	v_max3_f32 v22, |v136|, |v137|, v22                        // 00000000A664: D1D30316 045B1388
	v_max3_f32 v22, |v138|, |v139|, v22                        // 00000000A66C: D1D30316 045B178A
	v_max3_f32 v23, |v140|, |v141|, v23                        // 00000000A674: D1D30317 045F1B8C
	v_max3_f32 v23, |v142|, |v143|, v23                        // 00000000A67C: D1D30317 045F1F8E
	v_max3_f32 v22, |v144|, |v145|, v22                        // 00000000A684: D1D30316 045B2390
	v_max3_f32 v22, |v146|, |v147|, v22                        // 00000000A68C: D1D30316 045B2792
	v_max3_f32 v23, |v148|, |v149|, v23                        // 00000000A694: D1D30317 045F2B94
	v_max3_f32 v23, |v150|, |v151|, v23                        // 00000000A69C: D1D30317 045F2F96
	v_max3_f32 v22, |v152|, |v153|, v22                        // 00000000A6A4: D1D30316 045B3398
	v_max3_f32 v22, |v154|, |v155|, v22                        // 00000000A6AC: D1D30316 045B379A
	v_max3_f32 v23, |v156|, |v157|, v23                        // 00000000A6B4: D1D30317 045F3B9C
	v_max3_f32 v23, |v158|, |v159|, v23                        // 00000000A6BC: D1D30317 045F3F9E
	v_max3_f32 v22, |v160|, |v161|, v22                        // 00000000A6C4: D1D30316 045B43A0
	v_max3_f32 v22, |v162|, |v163|, v22                        // 00000000A6CC: D1D30316 045B47A2
	v_max3_f32 v23, |v164|, |v165|, v23                        // 00000000A6D4: D1D30317 045F4BA4
	v_max3_f32 v23, |v166|, |v167|, v23                        // 00000000A6DC: D1D30317 045F4FA6
	v_max3_f32 v22, |v168|, |v169|, v22                        // 00000000A6E4: D1D30316 045B53A8
	v_max3_f32 v22, |v170|, |v171|, v22                        // 00000000A6EC: D1D30316 045B57AA
	v_max3_f32 v23, |v172|, |v173|, v23                        // 00000000A6F4: D1D30317 045F5BAC
	v_max3_f32 v23, |v174|, |v175|, v23                        // 00000000A6FC: D1D30317 045F5FAE
	v_max3_f32 v22, |v176|, |v177|, v22                        // 00000000A704: D1D30316 045B63B0
	v_max3_f32 v22, |v178|, |v179|, v22                        // 00000000A70C: D1D30316 045B67B2
	v_max3_f32 v23, |v180|, |v181|, v23                        // 00000000A714: D1D30317 045F6BB4
	v_max3_f32 v23, |v182|, |v183|, v23                        // 00000000A71C: D1D30317 045F6FB6
	v_lshlrev_b32_e32 v52, 3, v0                               // 00000000A724: 24680083
	s_mul_i32 s60, 0x200, s7                                   // 00000000A728: 923C07FF 00000200
	v_add_u32_e32 v52, s60, v52                                // 00000000A730: 6868683C
	ds_write_b64 v52, v[22:23] offset:16640                    // 00000000A734: D89A4100 00001634
	s_waitcnt lgkmcnt(0)                                       // 00000000A73C: BF8CC07F
	s_barrier                                                  // 00000000A740: BF8A0000
	v_and_b32_e32 v52, 15, v0                                  // 00000000A744: 2668008F
	v_lshlrev_b32_e32 v52, 3, v52                              // 00000000A748: 24686883
	ds_read_b64 v[96:97], v52 offset:16640                     // 00000000A74C: D8EC4100 60000034
	ds_read_b64 v[98:99], v52 offset:16768                     // 00000000A754: D8EC4180 62000034
	ds_read_b64 v[100:101], v52 offset:16896                   // 00000000A75C: D8EC4200 64000034
	ds_read_b64 v[102:103], v52 offset:17024                   // 00000000A764: D8EC4280 66000034
	ds_read_b64 v[104:105], v52 offset:17152                   // 00000000A76C: D8EC4300 68000034
	ds_read_b64 v[106:107], v52 offset:17280                   // 00000000A774: D8EC4380 6A000034
	ds_read_b64 v[108:109], v52 offset:17408                   // 00000000A77C: D8EC4400 6C000034
	ds_read_b64 v[110:111], v52 offset:17536                   // 00000000A784: D8EC4480 6E000034
	ds_read_b64 v[112:113], v52 offset:17664                   // 00000000A78C: D8EC4500 70000034
	ds_read_b64 v[114:115], v52 offset:17792                   // 00000000A794: D8EC4580 72000034
	ds_read_b64 v[116:117], v52 offset:17920                   // 00000000A79C: D8EC4600 74000034
	ds_read_b64 v[118:119], v52 offset:18048                   // 00000000A7A4: D8EC4680 76000034
	ds_read_b64 v[120:121], v52 offset:18176                   // 00000000A7AC: D8EC4700 78000034
	ds_read_b64 v[122:123], v52 offset:18304                   // 00000000A7B4: D8EC4780 7A000034
	ds_read_b64 v[124:125], v52 offset:18432                   // 00000000A7BC: D8EC4800 7C000034
	ds_read_b64 v[126:127], v52 offset:18560                   // 00000000A7C4: D8EC4880 7E000034
	s_waitcnt lgkmcnt(0)                                       // 00000000A7CC: BF8CC07F
	v_max3_f32 v22, |v96|, |v98|, v22                          // 00000000A7D0: D1D30316 045AC560
	v_max3_f32 v23, |v97|, |v99|, v23                          // 00000000A7D8: D1D30317 045EC761
	v_max3_f32 v22, |v100|, |v102|, v22                        // 00000000A7E0: D1D30316 045ACD64
	v_max3_f32 v23, |v101|, |v103|, v23                        // 00000000A7E8: D1D30317 045ECF65
	v_max3_f32 v22, |v104|, |v106|, v22                        // 00000000A7F0: D1D30316 045AD568
	v_max3_f32 v23, |v105|, |v107|, v23                        // 00000000A7F8: D1D30317 045ED769
	v_max3_f32 v22, |v108|, |v110|, v22                        // 00000000A800: D1D30316 045ADD6C
	v_max3_f32 v23, |v109|, |v111|, v23                        // 00000000A808: D1D30317 045EDF6D
	v_max3_f32 v22, |v112|, |v114|, v22                        // 00000000A810: D1D30316 045AE570
	v_max3_f32 v23, |v113|, |v115|, v23                        // 00000000A818: D1D30317 045EE771
	v_max3_f32 v22, |v116|, |v118|, v22                        // 00000000A820: D1D30316 045AED74
	v_max3_f32 v23, |v117|, |v119|, v23                        // 00000000A828: D1D30317 045EEF75
	v_max3_f32 v22, |v120|, |v122|, v22                        // 00000000A830: D1D30316 045AF578
	v_max3_f32 v23, |v121|, |v123|, v23                        // 00000000A838: D1D30317 045EF779
	v_max3_f32 v22, |v124|, |v126|, v22                        // 00000000A840: D1D30316 045AFD7C
	v_max3_f32 v23, |v125|, |v127|, v23                        // 00000000A848: D1D30317 045EFF7D
	v_rcp_f32_e32 v22, v22                                     // 00000000A850: 7E2C4516
	v_rcp_f32_e32 v23, v23                                     // 00000000A854: 7E2E4517
	v_mul_f32_e32 v22, 0x42fe0000, v22                         // 00000000A858: 0A2C2CFF 42FE0000
	v_mul_f32_e32 v23, 0x42fe0000, v23                         // 00000000A860: 0A2E2EFF 42FE0000
	v_mul_f32_e32 v128, v22, v128                              // 00000000A868: 0B010116
	v_mul_f32_e32 v129, v22, v129                              // 00000000A86C: 0B030316
	v_mul_f32_e32 v130, v22, v130                              // 00000000A870: 0B050516
	v_mul_f32_e32 v131, v22, v131                              // 00000000A874: 0B070716
	v_cvt_i32_f32_e32 v128, v128                               // 00000000A878: 7F001180
	v_cvt_i32_f32_e32 v129, v129                               // 00000000A87C: 7F021181
	v_cvt_i32_f32_e32 v130, v130                               // 00000000A880: 7F041182
	v_cvt_i32_f32_e32 v131, v131                               // 00000000A884: 7F061183
	v_perm_b32 v128, v129, v128, s53                           // 00000000A888: D1ED0080 00D70181
	v_perm_b32 v128, v130, v128, s54                           // 00000000A890: D1ED0080 00DB0182
	v_perm_b32 v128, v131, v128, s55                           // 00000000A898: D1ED0080 00DF0183
	v_mul_f32_e32 v132, v23, v132                              // 00000000A8A0: 0B090917
	v_mul_f32_e32 v133, v23, v133                              // 00000000A8A4: 0B0B0B17
	v_mul_f32_e32 v134, v23, v134                              // 00000000A8A8: 0B0D0D17
	v_mul_f32_e32 v135, v23, v135                              // 00000000A8AC: 0B0F0F17
	v_cvt_i32_f32_e32 v132, v132                               // 00000000A8B0: 7F081184
	v_cvt_i32_f32_e32 v133, v133                               // 00000000A8B4: 7F0A1185
	v_cvt_i32_f32_e32 v134, v134                               // 00000000A8B8: 7F0C1186
	v_cvt_i32_f32_e32 v135, v135                               // 00000000A8BC: 7F0E1187
	v_perm_b32 v129, v133, v132, s53                           // 00000000A8C0: D1ED0081 00D70985
	v_perm_b32 v129, v134, v129, s54                           // 00000000A8C8: D1ED0081 00DB0386
	v_perm_b32 v129, v135, v129, s55                           // 00000000A8D0: D1ED0081 00DF0387
	v_mul_f32_e32 v136, v22, v136                              // 00000000A8D8: 0B111116
	v_mul_f32_e32 v137, v22, v137                              // 00000000A8DC: 0B131316
	v_mul_f32_e32 v138, v22, v138                              // 00000000A8E0: 0B151516
	v_mul_f32_e32 v139, v22, v139                              // 00000000A8E4: 0B171716
	v_cvt_i32_f32_e32 v136, v136                               // 00000000A8E8: 7F101188
	v_cvt_i32_f32_e32 v137, v137                               // 00000000A8EC: 7F121189
	v_cvt_i32_f32_e32 v138, v138                               // 00000000A8F0: 7F14118A
	v_cvt_i32_f32_e32 v139, v139                               // 00000000A8F4: 7F16118B
	v_perm_b32 v130, v137, v136, s53                           // 00000000A8F8: D1ED0082 00D71189
	v_perm_b32 v130, v138, v130, s54                           // 00000000A900: D1ED0082 00DB058A
	v_perm_b32 v130, v139, v130, s55                           // 00000000A908: D1ED0082 00DF058B
	v_mul_f32_e32 v140, v23, v140                              // 00000000A910: 0B191917
	v_mul_f32_e32 v141, v23, v141                              // 00000000A914: 0B1B1B17
	v_mul_f32_e32 v142, v23, v142                              // 00000000A918: 0B1D1D17
	v_mul_f32_e32 v143, v23, v143                              // 00000000A91C: 0B1F1F17
	v_cvt_i32_f32_e32 v140, v140                               // 00000000A920: 7F18118C
	v_cvt_i32_f32_e32 v141, v141                               // 00000000A924: 7F1A118D
	v_cvt_i32_f32_e32 v142, v142                               // 00000000A928: 7F1C118E
	v_cvt_i32_f32_e32 v143, v143                               // 00000000A92C: 7F1E118F
	v_perm_b32 v131, v141, v140, s53                           // 00000000A930: D1ED0083 00D7198D
	v_perm_b32 v131, v142, v131, s54                           // 00000000A938: D1ED0083 00DB078E
	v_perm_b32 v131, v143, v131, s55                           // 00000000A940: D1ED0083 00DF078F
	v_mul_f32_e32 v144, v22, v144                              // 00000000A948: 0B212116
	v_mul_f32_e32 v145, v22, v145                              // 00000000A94C: 0B232316
	v_mul_f32_e32 v146, v22, v146                              // 00000000A950: 0B252516
	v_mul_f32_e32 v147, v22, v147                              // 00000000A954: 0B272716
	v_cvt_i32_f32_e32 v144, v144                               // 00000000A958: 7F201190
	v_cvt_i32_f32_e32 v145, v145                               // 00000000A95C: 7F221191
	v_cvt_i32_f32_e32 v146, v146                               // 00000000A960: 7F241192
	v_cvt_i32_f32_e32 v147, v147                               // 00000000A964: 7F261193
	v_perm_b32 v132, v145, v144, s53                           // 00000000A968: D1ED0084 00D72191
	v_perm_b32 v132, v146, v132, s54                           // 00000000A970: D1ED0084 00DB0992
	v_perm_b32 v132, v147, v132, s55                           // 00000000A978: D1ED0084 00DF0993
	v_mul_f32_e32 v148, v23, v148                              // 00000000A980: 0B292917
	v_mul_f32_e32 v149, v23, v149                              // 00000000A984: 0B2B2B17
	v_mul_f32_e32 v150, v23, v150                              // 00000000A988: 0B2D2D17
	v_mul_f32_e32 v151, v23, v151                              // 00000000A98C: 0B2F2F17
	v_cvt_i32_f32_e32 v148, v148                               // 00000000A990: 7F281194
	v_cvt_i32_f32_e32 v149, v149                               // 00000000A994: 7F2A1195
	v_cvt_i32_f32_e32 v150, v150                               // 00000000A998: 7F2C1196
	v_cvt_i32_f32_e32 v151, v151                               // 00000000A99C: 7F2E1197
	v_perm_b32 v133, v149, v148, s53                           // 00000000A9A0: D1ED0085 00D72995
	v_perm_b32 v133, v150, v133, s54                           // 00000000A9A8: D1ED0085 00DB0B96
	v_perm_b32 v133, v151, v133, s55                           // 00000000A9B0: D1ED0085 00DF0B97
	v_mul_f32_e32 v152, v22, v152                              // 00000000A9B8: 0B313116
	v_mul_f32_e32 v153, v22, v153                              // 00000000A9BC: 0B333316
	v_mul_f32_e32 v154, v22, v154                              // 00000000A9C0: 0B353516
	v_mul_f32_e32 v155, v22, v155                              // 00000000A9C4: 0B373716
	v_cvt_i32_f32_e32 v152, v152                               // 00000000A9C8: 7F301198
	v_cvt_i32_f32_e32 v153, v153                               // 00000000A9CC: 7F321199
	v_cvt_i32_f32_e32 v154, v154                               // 00000000A9D0: 7F34119A
	v_cvt_i32_f32_e32 v155, v155                               // 00000000A9D4: 7F36119B
	v_perm_b32 v134, v153, v152, s53                           // 00000000A9D8: D1ED0086 00D73199
	v_perm_b32 v134, v154, v134, s54                           // 00000000A9E0: D1ED0086 00DB0D9A
	v_perm_b32 v134, v155, v134, s55                           // 00000000A9E8: D1ED0086 00DF0D9B
	v_mul_f32_e32 v156, v23, v156                              // 00000000A9F0: 0B393917
	v_mul_f32_e32 v157, v23, v157                              // 00000000A9F4: 0B3B3B17
	v_mul_f32_e32 v158, v23, v158                              // 00000000A9F8: 0B3D3D17
	v_mul_f32_e32 v159, v23, v159                              // 00000000A9FC: 0B3F3F17
	v_cvt_i32_f32_e32 v156, v156                               // 00000000AA00: 7F38119C
	v_cvt_i32_f32_e32 v157, v157                               // 00000000AA04: 7F3A119D
	v_cvt_i32_f32_e32 v158, v158                               // 00000000AA08: 7F3C119E
	v_cvt_i32_f32_e32 v159, v159                               // 00000000AA0C: 7F3E119F
	v_perm_b32 v135, v157, v156, s53                           // 00000000AA10: D1ED0087 00D7399D
	v_perm_b32 v135, v158, v135, s54                           // 00000000AA18: D1ED0087 00DB0F9E
	v_perm_b32 v135, v159, v135, s55                           // 00000000AA20: D1ED0087 00DF0F9F
	v_mul_f32_e32 v160, v22, v160                              // 00000000AA28: 0B414116
	v_mul_f32_e32 v161, v22, v161                              // 00000000AA2C: 0B434316
	v_mul_f32_e32 v162, v22, v162                              // 00000000AA30: 0B454516
	v_mul_f32_e32 v163, v22, v163                              // 00000000AA34: 0B474716
	v_cvt_i32_f32_e32 v160, v160                               // 00000000AA38: 7F4011A0
	v_cvt_i32_f32_e32 v161, v161                               // 00000000AA3C: 7F4211A1
	v_cvt_i32_f32_e32 v162, v162                               // 00000000AA40: 7F4411A2
	v_cvt_i32_f32_e32 v163, v163                               // 00000000AA44: 7F4611A3
	v_perm_b32 v136, v161, v160, s53                           // 00000000AA48: D1ED0088 00D741A1
	v_perm_b32 v136, v162, v136, s54                           // 00000000AA50: D1ED0088 00DB11A2
	v_perm_b32 v136, v163, v136, s55                           // 00000000AA58: D1ED0088 00DF11A3
	v_mul_f32_e32 v164, v23, v164                              // 00000000AA60: 0B494917
	v_mul_f32_e32 v165, v23, v165                              // 00000000AA64: 0B4B4B17
	v_mul_f32_e32 v166, v23, v166                              // 00000000AA68: 0B4D4D17
	v_mul_f32_e32 v167, v23, v167                              // 00000000AA6C: 0B4F4F17
	v_cvt_i32_f32_e32 v164, v164                               // 00000000AA70: 7F4811A4
	v_cvt_i32_f32_e32 v165, v165                               // 00000000AA74: 7F4A11A5
	v_cvt_i32_f32_e32 v166, v166                               // 00000000AA78: 7F4C11A6
	v_cvt_i32_f32_e32 v167, v167                               // 00000000AA7C: 7F4E11A7
	v_perm_b32 v137, v165, v164, s53                           // 00000000AA80: D1ED0089 00D749A5
	v_perm_b32 v137, v166, v137, s54                           // 00000000AA88: D1ED0089 00DB13A6
	v_perm_b32 v137, v167, v137, s55                           // 00000000AA90: D1ED0089 00DF13A7
	v_mul_f32_e32 v168, v22, v168                              // 00000000AA98: 0B515116
	v_mul_f32_e32 v169, v22, v169                              // 00000000AA9C: 0B535316
	v_mul_f32_e32 v170, v22, v170                              // 00000000AAA0: 0B555516
	v_mul_f32_e32 v171, v22, v171                              // 00000000AAA4: 0B575716
	v_cvt_i32_f32_e32 v168, v168                               // 00000000AAA8: 7F5011A8
	v_cvt_i32_f32_e32 v169, v169                               // 00000000AAAC: 7F5211A9
	v_cvt_i32_f32_e32 v170, v170                               // 00000000AAB0: 7F5411AA
	v_cvt_i32_f32_e32 v171, v171                               // 00000000AAB4: 7F5611AB
	v_perm_b32 v138, v169, v168, s53                           // 00000000AAB8: D1ED008A 00D751A9
	v_perm_b32 v138, v170, v138, s54                           // 00000000AAC0: D1ED008A 00DB15AA
	v_perm_b32 v138, v171, v138, s55                           // 00000000AAC8: D1ED008A 00DF15AB
	v_mul_f32_e32 v172, v23, v172                              // 00000000AAD0: 0B595917
	v_mul_f32_e32 v173, v23, v173                              // 00000000AAD4: 0B5B5B17
	v_mul_f32_e32 v174, v23, v174                              // 00000000AAD8: 0B5D5D17
	v_mul_f32_e32 v175, v23, v175                              // 00000000AADC: 0B5F5F17
	v_cvt_i32_f32_e32 v172, v172                               // 00000000AAE0: 7F5811AC
	v_cvt_i32_f32_e32 v173, v173                               // 00000000AAE4: 7F5A11AD
	v_cvt_i32_f32_e32 v174, v174                               // 00000000AAE8: 7F5C11AE
	v_cvt_i32_f32_e32 v175, v175                               // 00000000AAEC: 7F5E11AF
	v_perm_b32 v139, v173, v172, s53                           // 00000000AAF0: D1ED008B 00D759AD
	v_perm_b32 v139, v174, v139, s54                           // 00000000AAF8: D1ED008B 00DB17AE
	v_perm_b32 v139, v175, v139, s55                           // 00000000AB00: D1ED008B 00DF17AF
	v_mul_f32_e32 v176, v22, v176                              // 00000000AB08: 0B616116
	v_mul_f32_e32 v177, v22, v177                              // 00000000AB0C: 0B636316
	v_mul_f32_e32 v178, v22, v178                              // 00000000AB10: 0B656516
	v_mul_f32_e32 v179, v22, v179                              // 00000000AB14: 0B676716
	v_cvt_i32_f32_e32 v176, v176                               // 00000000AB18: 7F6011B0
	v_cvt_i32_f32_e32 v177, v177                               // 00000000AB1C: 7F6211B1
	v_cvt_i32_f32_e32 v178, v178                               // 00000000AB20: 7F6411B2
	v_cvt_i32_f32_e32 v179, v179                               // 00000000AB24: 7F6611B3
	v_perm_b32 v140, v177, v176, s53                           // 00000000AB28: D1ED008C 00D761B1
	v_perm_b32 v140, v178, v140, s54                           // 00000000AB30: D1ED008C 00DB19B2
	v_perm_b32 v140, v179, v140, s55                           // 00000000AB38: D1ED008C 00DF19B3
	v_mul_f32_e32 v180, v23, v180                              // 00000000AB40: 0B696917
	v_mul_f32_e32 v181, v23, v181                              // 00000000AB44: 0B6B6B17
	v_mul_f32_e32 v182, v23, v182                              // 00000000AB48: 0B6D6D17
	v_mul_f32_e32 v183, v23, v183                              // 00000000AB4C: 0B6F6F17
	v_cvt_i32_f32_e32 v180, v180                               // 00000000AB50: 7F6811B4
	v_cvt_i32_f32_e32 v181, v181                               // 00000000AB54: 7F6A11B5
	v_cvt_i32_f32_e32 v182, v182                               // 00000000AB58: 7F6C11B6
	v_cvt_i32_f32_e32 v183, v183                               // 00000000AB5C: 7F6E11B7
	v_perm_b32 v141, v181, v180, s53                           // 00000000AB60: D1ED008D 00D769B5
	v_perm_b32 v141, v182, v141, s54                           // 00000000AB68: D1ED008D 00DB1BB6
	v_perm_b32 v141, v183, v141, s55                           // 00000000AB70: D1ED008D 00DF1BB7
	v_rcp_f32_e32 v24, v22                                     // 00000000AB78: 7E304516
	v_rcp_f32_e32 v25, v23                                     // 00000000AB7C: 7E324517
	v_lshrrev_b32_e32 v52, 5, v0                               // 00000000AB80: 20680085
	v_lshlrev_b32_e32 v53, 5, v52                              // 00000000AB84: 246A6885
	v_and_b32_e32 v52, 31, v0                                  // 00000000AB88: 2668009F
	v_lshrrev_b32_e32 v54, 4, v52                              // 00000000AB8C: 206C6884
	v_add_u32_e32 v53, v54, v53                                // 00000000AB90: 686A6B36
	v_and_b32_e32 v52, 15, v0                                  // 00000000AB94: 2668008F
	v_lshlrev_b32_e32 v52, 1, v52                              // 00000000AB98: 24686881
	v_add_u32_e32 v53, v52, v53                                // 00000000AB9C: 686A6B34
	v_lshlrev_b32_e32 v52, 2, v53                              // 00000000ABA0: 24686A82
	s_mul_i32 s60, 0x100, s7                                   // 00000000ABA4: 923C07FF 00000100
	v_add_u32_e64 v52, v52, s60                                // 00000000ABAC: D1340034 00007934
	ds_write_b32 v52, v128 offset:18688                        // 00000000ABB4: D81A4900 00008034
	ds_write_b32 v52, v129 offset:25856                        // 00000000ABBC: D81A6500 00008134
	ds_write_b32 v52, v130 offset:19712                        // 00000000ABC4: D81A4D00 00008234
	ds_write_b32 v52, v131 offset:26880                        // 00000000ABCC: D81A6900 00008334
	ds_write_b32 v52, v132 offset:20736                        // 00000000ABD4: D81A5100 00008434
	ds_write_b32 v52, v133 offset:27904                        // 00000000ABDC: D81A6D00 00008534
	ds_write_b32 v52, v134 offset:21760                        // 00000000ABE4: D81A5500 00008634
	ds_write_b32 v52, v135 offset:28928                        // 00000000ABEC: D81A7100 00008734
	ds_write_b32 v52, v136 offset:22784                        // 00000000ABF4: D81A5900 00008834
	ds_write_b32 v52, v137 offset:29952                        // 00000000ABFC: D81A7500 00008934
	ds_write_b32 v52, v138 offset:23808                        // 00000000AC04: D81A5D00 00008A34
	ds_write_b32 v52, v139 offset:30976                        // 00000000AC0C: D81A7900 00008B34
	ds_write_b32 v52, v140 offset:24832                        // 00000000AC14: D81A6100 00008C34
	ds_write_b32 v52, v141 offset:32000                        // 00000000AC1C: D81A7D00 00008D34
	s_waitcnt lgkmcnt(0)                                       // 00000000AC24: BF8CC07F
	s_barrier                                                  // 00000000AC28: BF8A0000
	v_lshrrev_b32_e32 v52, 4, v0                               // 00000000AC2C: 20680084
	v_lshlrev_b32_e32 v53, 6, v52                              // 00000000AC30: 246A6886
	v_and_b32_e32 v52, 15, v0                                  // 00000000AC34: 2668008F
	v_lshlrev_b32_e32 v52, 1, v52                              // 00000000AC38: 24686881
	v_add_u32_e32 v53, v52, v53                                // 00000000AC3C: 686A6B34
	v_lshlrev_b32_e32 v52, 2, v53                              // 00000000AC40: 24686A82
	ds_read_b64 v[128:129], v52 offset:18688                   // 00000000AC44: D8EC4900 80000034
	ds_read_b64 v[130:131], v52 offset:18816                   // 00000000AC4C: D8EC4980 82000034
	ds_read_b64 v[132:133], v52 offset:19712                   // 00000000AC54: D8EC4D00 84000034
	ds_read_b64 v[134:135], v52 offset:19840                   // 00000000AC5C: D8EC4D80 86000034
	ds_read_b64 v[136:137], v52 offset:20736                   // 00000000AC64: D8EC5100 88000034
	ds_read_b64 v[138:139], v52 offset:20864                   // 00000000AC6C: D8EC5180 8A000034
	ds_read_b64 v[140:141], v52 offset:21760                   // 00000000AC74: D8EC5500 8C000034
	ds_read_b64 v[142:143], v52 offset:21888                   // 00000000AC7C: D8EC5580 8E000034
	ds_read_b64 v[144:145], v52 offset:22784                   // 00000000AC84: D8EC5900 90000034
	ds_read_b64 v[146:147], v52 offset:22912                   // 00000000AC8C: D8EC5980 92000034
	ds_read_b64 v[148:149], v52 offset:23808                   // 00000000AC94: D8EC5D00 94000034
	ds_read_b64 v[150:151], v52 offset:23936                   // 00000000AC9C: D8EC5D80 96000034
	ds_read_b64 v[152:153], v52 offset:24832                   // 00000000ACA4: D8EC6100 98000034
	ds_read_b64 v[154:155], v52 offset:24960                   // 00000000ACAC: D8EC6180 9A000034
	ds_read_b64 v[156:157], v52 offset:25856                   // 00000000ACB4: D8EC6500 9C000034
	ds_read_b64 v[158:159], v52 offset:25984                   // 00000000ACBC: D8EC6580 9E000034
	ds_read_b64 v[160:161], v52 offset:26880                   // 00000000ACC4: D8EC6900 A0000034
	ds_read_b64 v[162:163], v52 offset:27008                   // 00000000ACCC: D8EC6980 A2000034
	ds_read_b64 v[164:165], v52 offset:27904                   // 00000000ACD4: D8EC6D00 A4000034
	ds_read_b64 v[166:167], v52 offset:28032                   // 00000000ACDC: D8EC6D80 A6000034
	ds_read_b64 v[168:169], v52 offset:28928                   // 00000000ACE4: D8EC7100 A8000034
	ds_read_b64 v[170:171], v52 offset:29056                   // 00000000ACEC: D8EC7180 AA000034
	ds_read_b64 v[172:173], v52 offset:29952                   // 00000000ACF4: D8EC7500 AC000034
	ds_read_b64 v[174:175], v52 offset:30080                   // 00000000ACFC: D8EC7580 AE000034
	ds_read_b64 v[176:177], v52 offset:30976                   // 00000000AD04: D8EC7900 B0000034
	ds_read_b64 v[178:179], v52 offset:31104                   // 00000000AD0C: D8EC7980 B2000034
	ds_read_b64 v[180:181], v52 offset:32000                   // 00000000AD14: D8EC7D00 B4000034
	ds_read_b64 v[182:183], v52 offset:32128                   // 00000000AD1C: D8EC7D80 B6000034
	s_add_u32 s12, s56, s12                                    // 00000000AD24: 800C0C38
	s_addc_u32 s13, 0, s13                                     // 00000000AD28: 820D0D80
	s_add_u32 s16, s79, s16                                    // 00000000AD2C: 8010104F
	s_addc_u32 s17, 0, s17                                     // 00000000AD30: 82111180
	s_mov_b32 s80, 0                                           // 00000000AD34: BED00080
	s_waitcnt vmcnt(0) expcnt(0) lgkmcnt(0)                    // 00000000AD38: BF8C0000

000000000000ad3c <label_1FCF>:
	s_waitcnt vmcnt(41)                                        // 00000000AD3C: BF8C8F79
	s_barrier                                                  // 00000000AD40: BF8A0000
	v_mfma_i32_16x16x32_i8 v[184:187], a[0:1], v[128:129], 0   // 00000000AD44: D3D700B8 0A030100
	buffer_load_dwordx4 a[112:115], v41, s[12:15], 0 offen     // 00000000AD4C: E05C1000 80837029
	v_mfma_i32_16x16x32_i8 v[184:187], a[2:3], v[130:131], v[184:187]// 00000000AD54: D3D700B8 0EE30502
	v_mfma_i32_16x16x32_i8 v[188:191], a[0:1], v[156:157], 0   // 00000000AD5C: D3D700BC 0A033900
	v_mfma_i32_16x16x32_i8 v[188:191], a[2:3], v[158:159], v[188:191]// 00000000AD64: D3D700BC 0EF33D02
	v_mfma_i32_16x16x32_i8 v[192:195], a[4:5], v[128:129], 0   // 00000000AD6C: D3D700C0 0A030104
	buffer_load_dwordx4 a[116:119], v42, s[12:15], 0 offen     // 00000000AD74: E05C1000 8083742A
	v_mfma_i32_16x16x32_i8 v[192:195], a[6:7], v[130:131], v[192:195]// 00000000AD7C: D3D700C0 0F030506
	v_mfma_i32_16x16x32_i8 v[196:199], a[4:5], v[156:157], 0   // 00000000AD84: D3D700C4 0A033904
	v_mfma_i32_16x16x32_i8 v[196:199], a[6:7], v[158:159], v[196:199]// 00000000AD8C: D3D700C4 0F133D06
	v_mfma_i32_16x16x32_i8 v[200:203], a[8:9], v[128:129], 0   // 00000000AD94: D3D700C8 0A030108
	buffer_load_dwordx4 a[120:123], v43, s[12:15], 0 offen     // 00000000AD9C: E05C1000 8083782B
	v_mfma_i32_16x16x32_i8 v[200:203], a[10:11], v[130:131], v[200:203]// 00000000ADA4: D3D700C8 0F23050A
	v_mfma_i32_16x16x32_i8 v[204:207], a[8:9], v[156:157], 0   // 00000000ADAC: D3D700CC 0A033908
	v_mfma_i32_16x16x32_i8 v[204:207], a[10:11], v[158:159], v[204:207]// 00000000ADB4: D3D700CC 0F333D0A
	v_mfma_i32_16x16x32_i8 v[208:211], a[12:13], v[128:129], 0 // 00000000ADBC: D3D700D0 0A03010C
	buffer_load_dwordx4 a[124:127], v44, s[12:15], 0 offen     // 00000000ADC4: E05C1000 80837C2C
	s_add_u32 s12, s78, s12                                    // 00000000ADCC: 800C0C4E
	s_addc_u32 s13, 0, s13                                     // 00000000ADD0: 820D0D80
	v_mfma_i32_16x16x32_i8 v[208:211], a[14:15], v[130:131], v[208:211]// 00000000ADD4: D3D700D0 0F43050E
	v_mfma_i32_16x16x32_i8 v[212:215], a[12:13], v[156:157], 0 // 00000000ADDC: D3D700D4 0A03390C
	v_mfma_i32_16x16x32_i8 v[212:215], a[14:15], v[158:159], v[212:215]// 00000000ADE4: D3D700D4 0F533D0E
	s_waitcnt vmcnt(41)                                        // 00000000ADEC: BF8C8F79
	v_mfma_i32_16x16x32_i8 v[184:187], a[16:17], v[132:133], v[184:187]// 00000000ADF0: D3D700B8 0EE30910
	buffer_load_dwordx4 a[128:131], v41, s[12:15], 0 offen     // 00000000ADF8: E05C1000 80838029
	v_mfma_i32_16x16x32_i8 v[184:187], a[18:19], v[134:135], v[184:187]// 00000000AE00: D3D700B8 0EE30D12
	v_mfma_i32_16x16x32_i8 v[188:191], a[16:17], v[160:161], v[188:191]// 00000000AE08: D3D700BC 0EF34110
	v_mfma_i32_16x16x32_i8 v[188:191], a[18:19], v[162:163], v[188:191]// 00000000AE10: D3D700BC 0EF34512
	v_mfma_i32_16x16x32_i8 v[192:195], a[20:21], v[132:133], v[192:195]// 00000000AE18: D3D700C0 0F030914
	buffer_load_dwordx4 a[132:135], v42, s[12:15], 0 offen     // 00000000AE20: E05C1000 8083842A
	v_mfma_i32_16x16x32_i8 v[192:195], a[22:23], v[134:135], v[192:195]// 00000000AE28: D3D700C0 0F030D16
	v_mfma_i32_16x16x32_i8 v[196:199], a[20:21], v[160:161], v[196:199]// 00000000AE30: D3D700C4 0F134114
	v_mfma_i32_16x16x32_i8 v[196:199], a[22:23], v[162:163], v[196:199]// 00000000AE38: D3D700C4 0F134516
	v_mfma_i32_16x16x32_i8 v[200:203], a[24:25], v[132:133], v[200:203]// 00000000AE40: D3D700C8 0F230918
	buffer_load_dwordx4 a[136:139], v43, s[12:15], 0 offen     // 00000000AE48: E05C1000 8083882B
	v_mfma_i32_16x16x32_i8 v[200:203], a[26:27], v[134:135], v[200:203]// 00000000AE50: D3D700C8 0F230D1A
	v_mfma_i32_16x16x32_i8 v[204:207], a[24:25], v[160:161], v[204:207]// 00000000AE58: D3D700CC 0F334118
	v_mfma_i32_16x16x32_i8 v[204:207], a[26:27], v[162:163], v[204:207]// 00000000AE60: D3D700CC 0F33451A
	v_mfma_i32_16x16x32_i8 v[208:211], a[28:29], v[132:133], v[208:211]// 00000000AE68: D3D700D0 0F43091C
	buffer_load_dwordx4 a[140:143], v44, s[12:15], 0 offen     // 00000000AE70: E05C1000 80838C2C
	s_add_u32 s12, s78, s12                                    // 00000000AE78: 800C0C4E
	s_addc_u32 s13, 0, s13                                     // 00000000AE7C: 820D0D80
	v_mfma_i32_16x16x32_i8 v[208:211], a[30:31], v[134:135], v[208:211]// 00000000AE80: D3D700D0 0F430D1E
	v_mfma_i32_16x16x32_i8 v[212:215], a[28:29], v[160:161], v[212:215]// 00000000AE88: D3D700D4 0F53411C
	v_mfma_i32_16x16x32_i8 v[212:215], a[30:31], v[162:163], v[212:215]// 00000000AE90: D3D700D4 0F53451E
	s_waitcnt vmcnt(41)                                        // 00000000AE98: BF8C8F79
	v_mfma_i32_16x16x32_i8 v[184:187], a[32:33], v[136:137], v[184:187]// 00000000AE9C: D3D700B8 0EE31120
	buffer_load_dwordx4 a[144:147], v41, s[12:15], 0 offen     // 00000000AEA4: E05C1000 80839029
	v_mfma_i32_16x16x32_i8 v[184:187], a[34:35], v[138:139], v[184:187]// 00000000AEAC: D3D700B8 0EE31522
	v_mfma_i32_16x16x32_i8 v[188:191], a[32:33], v[164:165], v[188:191]// 00000000AEB4: D3D700BC 0EF34920
	v_mfma_i32_16x16x32_i8 v[188:191], a[34:35], v[166:167], v[188:191]// 00000000AEBC: D3D700BC 0EF34D22
	v_mfma_i32_16x16x32_i8 v[192:195], a[36:37], v[136:137], v[192:195]// 00000000AEC4: D3D700C0 0F031124
	buffer_load_dwordx4 a[148:151], v42, s[12:15], 0 offen     // 00000000AECC: E05C1000 8083942A
	v_mfma_i32_16x16x32_i8 v[192:195], a[38:39], v[138:139], v[192:195]// 00000000AED4: D3D700C0 0F031526
	v_mfma_i32_16x16x32_i8 v[196:199], a[36:37], v[164:165], v[196:199]// 00000000AEDC: D3D700C4 0F134924
	v_mfma_i32_16x16x32_i8 v[196:199], a[38:39], v[166:167], v[196:199]// 00000000AEE4: D3D700C4 0F134D26
	v_mfma_i32_16x16x32_i8 v[200:203], a[40:41], v[136:137], v[200:203]// 00000000AEEC: D3D700C8 0F231128
	buffer_load_dwordx4 a[152:155], v43, s[12:15], 0 offen     // 00000000AEF4: E05C1000 8083982B
	v_mfma_i32_16x16x32_i8 v[200:203], a[42:43], v[138:139], v[200:203]// 00000000AEFC: D3D700C8 0F23152A
	v_mfma_i32_16x16x32_i8 v[204:207], a[40:41], v[164:165], v[204:207]// 00000000AF04: D3D700CC 0F334928
	v_mfma_i32_16x16x32_i8 v[204:207], a[42:43], v[166:167], v[204:207]// 00000000AF0C: D3D700CC 0F334D2A
	v_mfma_i32_16x16x32_i8 v[208:211], a[44:45], v[136:137], v[208:211]// 00000000AF14: D3D700D0 0F43112C
	buffer_load_dwordx4 a[156:159], v44, s[12:15], 0 offen     // 00000000AF1C: E05C1000 80839C2C
	s_add_u32 s12, s78, s12                                    // 00000000AF24: 800C0C4E
	s_addc_u32 s13, 0, s13                                     // 00000000AF28: 820D0D80
	v_mfma_i32_16x16x32_i8 v[208:211], a[46:47], v[138:139], v[208:211]// 00000000AF2C: D3D700D0 0F43152E
	v_mfma_i32_16x16x32_i8 v[212:215], a[44:45], v[164:165], v[212:215]// 00000000AF34: D3D700D4 0F53492C
	v_mfma_i32_16x16x32_i8 v[212:215], a[46:47], v[166:167], v[212:215]// 00000000AF3C: D3D700D4 0F534D2E
	s_waitcnt vmcnt(41)                                        // 00000000AF44: BF8C8F79
	v_mfma_i32_16x16x32_i8 v[184:187], a[48:49], v[140:141], v[184:187]// 00000000AF48: D3D700B8 0EE31930
	buffer_load_dwordx4 a[160:163], v41, s[12:15], 0 offen     // 00000000AF50: E05C1000 8083A029
	v_mfma_i32_16x16x32_i8 v[184:187], a[50:51], v[142:143], v[184:187]// 00000000AF58: D3D700B8 0EE31D32
	v_mfma_i32_16x16x32_i8 v[188:191], a[48:49], v[168:169], v[188:191]// 00000000AF60: D3D700BC 0EF35130
	v_mfma_i32_16x16x32_i8 v[188:191], a[50:51], v[170:171], v[188:191]// 00000000AF68: D3D700BC 0EF35532
	v_mfma_i32_16x16x32_i8 v[192:195], a[52:53], v[140:141], v[192:195]// 00000000AF70: D3D700C0 0F031934
	buffer_load_dwordx4 a[164:167], v42, s[12:15], 0 offen     // 00000000AF78: E05C1000 8083A42A
	v_mfma_i32_16x16x32_i8 v[192:195], a[54:55], v[142:143], v[192:195]// 00000000AF80: D3D700C0 0F031D36
	v_mfma_i32_16x16x32_i8 v[196:199], a[52:53], v[168:169], v[196:199]// 00000000AF88: D3D700C4 0F135134
	v_mfma_i32_16x16x32_i8 v[196:199], a[54:55], v[170:171], v[196:199]// 00000000AF90: D3D700C4 0F135536
	v_mfma_i32_16x16x32_i8 v[200:203], a[56:57], v[140:141], v[200:203]// 00000000AF98: D3D700C8 0F231938
	buffer_load_dwordx4 a[168:171], v43, s[12:15], 0 offen     // 00000000AFA0: E05C1000 8083A82B
	v_mfma_i32_16x16x32_i8 v[200:203], a[58:59], v[142:143], v[200:203]// 00000000AFA8: D3D700C8 0F231D3A
	v_mfma_i32_16x16x32_i8 v[204:207], a[56:57], v[168:169], v[204:207]// 00000000AFB0: D3D700CC 0F335138
	v_mfma_i32_16x16x32_i8 v[204:207], a[58:59], v[170:171], v[204:207]// 00000000AFB8: D3D700CC 0F33553A
	v_mfma_i32_16x16x32_i8 v[208:211], a[60:61], v[140:141], v[208:211]// 00000000AFC0: D3D700D0 0F43193C
	buffer_load_dwordx4 a[172:175], v44, s[12:15], 0 offen     // 00000000AFC8: E05C1000 8083AC2C
	s_add_u32 s12, s78, s12                                    // 00000000AFD0: 800C0C4E
	s_addc_u32 s13, 0, s13                                     // 00000000AFD4: 820D0D80
	v_mfma_i32_16x16x32_i8 v[208:211], a[62:63], v[142:143], v[208:211]// 00000000AFD8: D3D700D0 0F431D3E
	v_mfma_i32_16x16x32_i8 v[212:215], a[60:61], v[168:169], v[212:215]// 00000000AFE0: D3D700D4 0F53513C
	v_mfma_i32_16x16x32_i8 v[212:215], a[62:63], v[170:171], v[212:215]// 00000000AFE8: D3D700D4 0F53553E
	s_waitcnt vmcnt(41)                                        // 00000000AFF0: BF8C8F79
	v_mfma_i32_16x16x32_i8 v[184:187], a[64:65], v[144:145], v[184:187]// 00000000AFF4: D3D700B8 0EE32140
	buffer_load_dwordx4 a[176:179], v41, s[12:15], 0 offen     // 00000000AFFC: E05C1000 8083B029
	v_mfma_i32_16x16x32_i8 v[184:187], a[66:67], v[146:147], v[184:187]// 00000000B004: D3D700B8 0EE32542
	v_mfma_i32_16x16x32_i8 v[188:191], a[64:65], v[172:173], v[188:191]// 00000000B00C: D3D700BC 0EF35940
	v_mfma_i32_16x16x32_i8 v[188:191], a[66:67], v[174:175], v[188:191]// 00000000B014: D3D700BC 0EF35D42
	v_mfma_i32_16x16x32_i8 v[192:195], a[68:69], v[144:145], v[192:195]// 00000000B01C: D3D700C0 0F032144
	buffer_load_dwordx4 a[180:183], v42, s[12:15], 0 offen     // 00000000B024: E05C1000 8083B42A
	v_mfma_i32_16x16x32_i8 v[192:195], a[70:71], v[146:147], v[192:195]// 00000000B02C: D3D700C0 0F032546
	v_mfma_i32_16x16x32_i8 v[196:199], a[68:69], v[172:173], v[196:199]// 00000000B034: D3D700C4 0F135944
	v_mfma_i32_16x16x32_i8 v[196:199], a[70:71], v[174:175], v[196:199]// 00000000B03C: D3D700C4 0F135D46
	v_mfma_i32_16x16x32_i8 v[200:203], a[72:73], v[144:145], v[200:203]// 00000000B044: D3D700C8 0F232148
	buffer_load_dwordx4 a[184:187], v43, s[12:15], 0 offen     // 00000000B04C: E05C1000 8083B82B
	v_mfma_i32_16x16x32_i8 v[200:203], a[74:75], v[146:147], v[200:203]// 00000000B054: D3D700C8 0F23254A
	v_mfma_i32_16x16x32_i8 v[204:207], a[72:73], v[172:173], v[204:207]// 00000000B05C: D3D700CC 0F335948
	v_mfma_i32_16x16x32_i8 v[204:207], a[74:75], v[174:175], v[204:207]// 00000000B064: D3D700CC 0F335D4A
	v_mfma_i32_16x16x32_i8 v[208:211], a[76:77], v[144:145], v[208:211]// 00000000B06C: D3D700D0 0F43214C
	buffer_load_dwordx4 a[188:191], v44, s[12:15], 0 offen     // 00000000B074: E05C1000 8083BC2C
	s_add_u32 s12, s78, s12                                    // 00000000B07C: 800C0C4E
	s_addc_u32 s13, 0, s13                                     // 00000000B080: 820D0D80
	v_mfma_i32_16x16x32_i8 v[208:211], a[78:79], v[146:147], v[208:211]// 00000000B084: D3D700D0 0F43254E
	v_mfma_i32_16x16x32_i8 v[212:215], a[76:77], v[172:173], v[212:215]// 00000000B08C: D3D700D4 0F53594C
	v_mfma_i32_16x16x32_i8 v[212:215], a[78:79], v[174:175], v[212:215]// 00000000B094: D3D700D4 0F535D4E
	s_waitcnt vmcnt(41)                                        // 00000000B09C: BF8C8F79
	v_mfma_i32_16x16x32_i8 v[184:187], a[80:81], v[148:149], v[184:187]// 00000000B0A0: D3D700B8 0EE32950
	buffer_load_dwordx4 a[192:195], v41, s[12:15], 0 offen     // 00000000B0A8: E05C1000 8083C029
	v_mfma_i32_16x16x32_i8 v[184:187], a[82:83], v[150:151], v[184:187]// 00000000B0B0: D3D700B8 0EE32D52
	v_mfma_i32_16x16x32_i8 v[188:191], a[80:81], v[176:177], v[188:191]// 00000000B0B8: D3D700BC 0EF36150
	v_mfma_i32_16x16x32_i8 v[188:191], a[82:83], v[178:179], v[188:191]// 00000000B0C0: D3D700BC 0EF36552
	v_mfma_i32_16x16x32_i8 v[192:195], a[84:85], v[148:149], v[192:195]// 00000000B0C8: D3D700C0 0F032954
	buffer_load_dwordx4 a[196:199], v42, s[12:15], 0 offen     // 00000000B0D0: E05C1000 8083C42A
	v_mfma_i32_16x16x32_i8 v[192:195], a[86:87], v[150:151], v[192:195]// 00000000B0D8: D3D700C0 0F032D56
	v_mfma_i32_16x16x32_i8 v[196:199], a[84:85], v[176:177], v[196:199]// 00000000B0E0: D3D700C4 0F136154
	v_mfma_i32_16x16x32_i8 v[196:199], a[86:87], v[178:179], v[196:199]// 00000000B0E8: D3D700C4 0F136556
	v_mfma_i32_16x16x32_i8 v[200:203], a[88:89], v[148:149], v[200:203]// 00000000B0F0: D3D700C8 0F232958
	buffer_load_dwordx4 a[200:203], v43, s[12:15], 0 offen     // 00000000B0F8: E05C1000 8083C82B
	v_mfma_i32_16x16x32_i8 v[200:203], a[90:91], v[150:151], v[200:203]// 00000000B100: D3D700C8 0F232D5A
	v_mfma_i32_16x16x32_i8 v[204:207], a[88:89], v[176:177], v[204:207]// 00000000B108: D3D700CC 0F336158
	v_mfma_i32_16x16x32_i8 v[204:207], a[90:91], v[178:179], v[204:207]// 00000000B110: D3D700CC 0F33655A
	v_mfma_i32_16x16x32_i8 v[208:211], a[92:93], v[148:149], v[208:211]// 00000000B118: D3D700D0 0F43295C
	buffer_load_dwordx4 a[204:207], v44, s[12:15], 0 offen     // 00000000B120: E05C1000 8083CC2C
	s_add_u32 s12, s78, s12                                    // 00000000B128: 800C0C4E
	s_addc_u32 s13, 0, s13                                     // 00000000B12C: 820D0D80
	v_mfma_i32_16x16x32_i8 v[208:211], a[94:95], v[150:151], v[208:211]// 00000000B130: D3D700D0 0F432D5E
	v_mfma_i32_16x16x32_i8 v[212:215], a[92:93], v[176:177], v[212:215]// 00000000B138: D3D700D4 0F53615C
	v_mfma_i32_16x16x32_i8 v[212:215], a[94:95], v[178:179], v[212:215]// 00000000B140: D3D700D4 0F53655E
	s_waitcnt vmcnt(40)                                        // 00000000B148: BF8C8F78
	v_mfma_i32_16x16x32_i8 v[184:187], a[96:97], v[152:153], v[184:187]// 00000000B14C: D3D700B8 0EE33160
	buffer_load_dwordx4 a[208:211], v41, s[12:15], 0 offen     // 00000000B154: E05C1000 8083D029
	v_mfma_i32_16x16x32_i8 v[184:187], a[98:99], v[154:155], v[184:187]// 00000000B15C: D3D700B8 0EE33562
	v_mfma_i32_16x16x32_i8 v[188:191], a[96:97], v[180:181], v[188:191]// 00000000B164: D3D700BC 0EF36960
	buffer_load_dword v13, v5, s[16:19], 0 offen               // 00000000B16C: E0501000 80040D05
	v_mfma_i32_16x16x32_i8 v[188:191], a[98:99], v[182:183], v[188:191]// 00000000B174: D3D700BC 0EF36D62
	v_mfma_i32_16x16x32_i8 v[192:195], a[100:101], v[152:153], v[192:195]// 00000000B17C: D3D700C0 0F033164
	buffer_load_dwordx4 a[212:215], v42, s[12:15], 0 offen     // 00000000B184: E05C1000 8083D42A
	v_mfma_i32_16x16x32_i8 v[192:195], a[102:103], v[154:155], v[192:195]// 00000000B18C: D3D700C0 0F033566
	v_mfma_i32_16x16x32_i8 v[196:199], a[100:101], v[180:181], v[196:199]// 00000000B194: D3D700C4 0F136964
	v_mfma_i32_16x16x32_i8 v[196:199], a[102:103], v[182:183], v[196:199]// 00000000B19C: D3D700C4 0F136D66
	v_mfma_i32_16x16x32_i8 v[200:203], a[104:105], v[152:153], v[200:203]// 00000000B1A4: D3D700C8 0F233168
	buffer_load_dwordx4 a[216:219], v43, s[12:15], 0 offen     // 00000000B1AC: E05C1000 8083D82B
	v_mfma_i32_16x16x32_i8 v[200:203], a[106:107], v[154:155], v[200:203]// 00000000B1B4: D3D700C8 0F23356A
	v_mfma_i32_16x16x32_i8 v[204:207], a[104:105], v[180:181], v[204:207]// 00000000B1BC: D3D700CC 0F336968
	v_mfma_i32_16x16x32_i8 v[204:207], a[106:107], v[182:183], v[204:207]// 00000000B1C4: D3D700CC 0F336D6A
	v_mfma_i32_16x16x32_i8 v[208:211], a[108:109], v[152:153], v[208:211]// 00000000B1CC: D3D700D0 0F43316C
	buffer_load_dwordx4 a[220:223], v44, s[12:15], 0 offen     // 00000000B1D4: E05C1000 8083DC2C
	v_mfma_i32_16x16x32_i8 v[208:211], a[110:111], v[154:155], v[208:211]// 00000000B1DC: D3D700D0 0F43356E
	v_mfma_i32_16x16x32_i8 v[212:215], a[108:109], v[180:181], v[212:215]// 00000000B1E4: D3D700D4 0F53696C
	v_mfma_i32_16x16x32_i8 v[212:215], a[110:111], v[182:183], v[212:215]// 00000000B1EC: D3D700D4 0F536D6E
	s_add_u32 s60, 0x200, s80                                  // 00000000B1F4: 803C50FF 00000200
	s_cmp_lt_u32 s60, s81                                      // 00000000B1FC: BF0A513C
	s_cselect_b32 s56, s56, 0                                  // 00000000B200: 85388038
	s_cselect_b32 s78, s78, 0                                  // 00000000B204: 854E804E
	s_cselect_b32 s79, s79, 0                                  // 00000000B208: 854F804F
	s_add_u32 s12, s56, s12                                    // 00000000B20C: 800C0C38
	s_addc_u32 s13, 0, s13                                     // 00000000B210: 820D0D80
	s_add_u32 s16, s79, s16                                    // 00000000B214: 8010104F
	s_addc_u32 s17, 0, s17                                     // 00000000B218: 82111180
	v_cvt_f32_i32_e32 v184, v184                               // 00000000B21C: 7F700BB8
	v_cvt_f32_i32_e32 v185, v185                               // 00000000B220: 7F720BB9
	v_cvt_f32_i32_e32 v186, v186                               // 00000000B224: 7F740BBA
	v_cvt_f32_i32_e32 v187, v187                               // 00000000B228: 7F760BBB
	v_mul_f32_e32 v184, v24, v184                              // 00000000B22C: 0B717118
	v_mul_f32_e32 v185, v24, v185                              // 00000000B230: 0B737318
	v_mul_f32_e32 v186, v24, v186                              // 00000000B234: 0B757518
	v_mul_f32_e32 v187, v24, v187                              // 00000000B238: 0B777718
	v_mul_f32_dpp v184, v12, v184 row_newbcast:0 row_mask:0xf bank_mask:0xf// 00000000B23C: 0B7170FA FF01500C
	v_mul_f32_dpp v185, v12, v185 row_newbcast:1 row_mask:0xf bank_mask:0xf// 00000000B244: 0B7372FA FF01510C
	v_mul_f32_dpp v186, v12, v186 row_newbcast:2 row_mask:0xf bank_mask:0xf// 00000000B24C: 0B7574FA FF01520C
	v_mul_f32_dpp v187, v12, v187 row_newbcast:3 row_mask:0xf bank_mask:0xf// 00000000B254: 0B7776FA FF01530C
	v_mul_f32_e32 v184, v20, v184                              // 00000000B25C: 0B717114
	v_mul_f32_e32 v185, v20, v185                              // 00000000B260: 0B737314
	v_mul_f32_e32 v186, v20, v186                              // 00000000B264: 0B757514
	v_mul_f32_e32 v187, v20, v187                              // 00000000B268: 0B777714
	v_cvt_f32_i32_e32 v188, v188                               // 00000000B26C: 7F780BBC
	v_cvt_f32_i32_e32 v189, v189                               // 00000000B270: 7F7A0BBD
	v_cvt_f32_i32_e32 v190, v190                               // 00000000B274: 7F7C0BBE
	v_cvt_f32_i32_e32 v191, v191                               // 00000000B278: 7F7E0BBF
	v_mul_f32_e32 v188, v25, v188                              // 00000000B27C: 0B797919
	v_mul_f32_e32 v189, v25, v189                              // 00000000B280: 0B7B7B19
	v_mul_f32_e32 v190, v25, v190                              // 00000000B284: 0B7D7D19
	v_mul_f32_e32 v191, v25, v191                              // 00000000B288: 0B7F7F19
	v_mul_f32_dpp v188, v12, v188 row_newbcast:0 row_mask:0xf bank_mask:0xf// 00000000B28C: 0B7978FA FF01500C
	v_mul_f32_dpp v189, v12, v189 row_newbcast:1 row_mask:0xf bank_mask:0xf// 00000000B294: 0B7B7AFA FF01510C
	v_mul_f32_dpp v190, v12, v190 row_newbcast:2 row_mask:0xf bank_mask:0xf// 00000000B29C: 0B7D7CFA FF01520C
	v_mul_f32_dpp v191, v12, v191 row_newbcast:3 row_mask:0xf bank_mask:0xf// 00000000B2A4: 0B7F7EFA FF01530C
	v_mul_f32_e32 v188, v21, v188                              // 00000000B2AC: 0B797915
	v_mul_f32_e32 v189, v21, v189                              // 00000000B2B0: 0B7B7B15
	v_mul_f32_e32 v190, v21, v190                              // 00000000B2B4: 0B7D7D15
	v_mul_f32_e32 v191, v21, v191                              // 00000000B2B8: 0B7F7F15
	v_cvt_f32_i32_e32 v192, v192                               // 00000000B2BC: 7F800BC0
	v_cvt_f32_i32_e32 v193, v193                               // 00000000B2C0: 7F820BC1
	v_cvt_f32_i32_e32 v194, v194                               // 00000000B2C4: 7F840BC2
	v_cvt_f32_i32_e32 v195, v195                               // 00000000B2C8: 7F860BC3
	v_mul_f32_e32 v192, v24, v192                              // 00000000B2CC: 0B818118
	v_mul_f32_e32 v193, v24, v193                              // 00000000B2D0: 0B838318
	v_mul_f32_e32 v194, v24, v194                              // 00000000B2D4: 0B858518
	v_mul_f32_e32 v195, v24, v195                              // 00000000B2D8: 0B878718
	v_mul_f32_dpp v192, v12, v192 row_newbcast:4 row_mask:0xf bank_mask:0xf// 00000000B2DC: 0B8180FA FF01540C
	v_mul_f32_dpp v193, v12, v193 row_newbcast:5 row_mask:0xf bank_mask:0xf// 00000000B2E4: 0B8382FA FF01550C
	v_mul_f32_dpp v194, v12, v194 row_newbcast:6 row_mask:0xf bank_mask:0xf// 00000000B2EC: 0B8584FA FF01560C
	v_mul_f32_dpp v195, v12, v195 row_newbcast:7 row_mask:0xf bank_mask:0xf// 00000000B2F4: 0B8786FA FF01570C
	v_mul_f32_e32 v192, v20, v192                              // 00000000B2FC: 0B818114
	v_mul_f32_e32 v193, v20, v193                              // 00000000B300: 0B838314
	v_mul_f32_e32 v194, v20, v194                              // 00000000B304: 0B858514
	v_mul_f32_e32 v195, v20, v195                              // 00000000B308: 0B878714
	v_cvt_f32_i32_e32 v196, v196                               // 00000000B30C: 7F880BC4
	v_cvt_f32_i32_e32 v197, v197                               // 00000000B310: 7F8A0BC5
	v_cvt_f32_i32_e32 v198, v198                               // 00000000B314: 7F8C0BC6
	v_cvt_f32_i32_e32 v199, v199                               // 00000000B318: 7F8E0BC7
	v_mul_f32_e32 v196, v25, v196                              // 00000000B31C: 0B898919
	v_mul_f32_e32 v197, v25, v197                              // 00000000B320: 0B8B8B19
	v_mul_f32_e32 v198, v25, v198                              // 00000000B324: 0B8D8D19
	v_mul_f32_e32 v199, v25, v199                              // 00000000B328: 0B8F8F19
	v_mul_f32_dpp v196, v12, v196 row_newbcast:4 row_mask:0xf bank_mask:0xf// 00000000B32C: 0B8988FA FF01540C
	v_mul_f32_dpp v197, v12, v197 row_newbcast:5 row_mask:0xf bank_mask:0xf// 00000000B334: 0B8B8AFA FF01550C
	v_mul_f32_dpp v198, v12, v198 row_newbcast:6 row_mask:0xf bank_mask:0xf// 00000000B33C: 0B8D8CFA FF01560C
	v_mul_f32_dpp v199, v12, v199 row_newbcast:7 row_mask:0xf bank_mask:0xf// 00000000B344: 0B8F8EFA FF01570C
	v_mul_f32_e32 v196, v21, v196                              // 00000000B34C: 0B898915
	v_mul_f32_e32 v197, v21, v197                              // 00000000B350: 0B8B8B15
	v_mul_f32_e32 v198, v21, v198                              // 00000000B354: 0B8D8D15
	v_mul_f32_e32 v199, v21, v199                              // 00000000B358: 0B8F8F15
	v_cvt_f32_i32_e32 v200, v200                               // 00000000B35C: 7F900BC8
	v_cvt_f32_i32_e32 v201, v201                               // 00000000B360: 7F920BC9
	v_cvt_f32_i32_e32 v202, v202                               // 00000000B364: 7F940BCA
	v_cvt_f32_i32_e32 v203, v203                               // 00000000B368: 7F960BCB
	v_mul_f32_e32 v200, v24, v200                              // 00000000B36C: 0B919118
	v_mul_f32_e32 v201, v24, v201                              // 00000000B370: 0B939318
	v_mul_f32_e32 v202, v24, v202                              // 00000000B374: 0B959518
	v_mul_f32_e32 v203, v24, v203                              // 00000000B378: 0B979718
	v_mul_f32_dpp v200, v12, v200 row_newbcast:8 row_mask:0xf bank_mask:0xf// 00000000B37C: 0B9190FA FF01580C
	v_mul_f32_dpp v201, v12, v201 row_newbcast:9 row_mask:0xf bank_mask:0xf// 00000000B384: 0B9392FA FF01590C
	v_mul_f32_dpp v202, v12, v202 row_newbcast:10 row_mask:0xf bank_mask:0xf// 00000000B38C: 0B9594FA FF015A0C
	v_mul_f32_dpp v203, v12, v203 row_newbcast:11 row_mask:0xf bank_mask:0xf// 00000000B394: 0B9796FA FF015B0C
	v_mul_f32_e32 v200, v20, v200                              // 00000000B39C: 0B919114
	v_mul_f32_e32 v201, v20, v201                              // 00000000B3A0: 0B939314
	v_mul_f32_e32 v202, v20, v202                              // 00000000B3A4: 0B959514
	v_mul_f32_e32 v203, v20, v203                              // 00000000B3A8: 0B979714
	v_cvt_f32_i32_e32 v204, v204                               // 00000000B3AC: 7F980BCC
	v_cvt_f32_i32_e32 v205, v205                               // 00000000B3B0: 7F9A0BCD
	v_cvt_f32_i32_e32 v206, v206                               // 00000000B3B4: 7F9C0BCE
	v_cvt_f32_i32_e32 v207, v207                               // 00000000B3B8: 7F9E0BCF
	v_mul_f32_e32 v204, v25, v204                              // 00000000B3BC: 0B999919
	v_mul_f32_e32 v205, v25, v205                              // 00000000B3C0: 0B9B9B19
	v_mul_f32_e32 v206, v25, v206                              // 00000000B3C4: 0B9D9D19
	v_mul_f32_e32 v207, v25, v207                              // 00000000B3C8: 0B9F9F19
	v_mul_f32_dpp v204, v12, v204 row_newbcast:8 row_mask:0xf bank_mask:0xf// 00000000B3CC: 0B9998FA FF01580C
	v_mul_f32_dpp v205, v12, v205 row_newbcast:9 row_mask:0xf bank_mask:0xf// 00000000B3D4: 0B9B9AFA FF01590C
	v_mul_f32_dpp v206, v12, v206 row_newbcast:10 row_mask:0xf bank_mask:0xf// 00000000B3DC: 0B9D9CFA FF015A0C
	v_mul_f32_dpp v207, v12, v207 row_newbcast:11 row_mask:0xf bank_mask:0xf// 00000000B3E4: 0B9F9EFA FF015B0C
	v_mul_f32_e32 v204, v21, v204                              // 00000000B3EC: 0B999915
	v_mul_f32_e32 v205, v21, v205                              // 00000000B3F0: 0B9B9B15
	v_mul_f32_e32 v206, v21, v206                              // 00000000B3F4: 0B9D9D15
	v_mul_f32_e32 v207, v21, v207                              // 00000000B3F8: 0B9F9F15
	v_cvt_f32_i32_e32 v208, v208                               // 00000000B3FC: 7FA00BD0
	v_cvt_f32_i32_e32 v209, v209                               // 00000000B400: 7FA20BD1
	v_cvt_f32_i32_e32 v210, v210                               // 00000000B404: 7FA40BD2
	v_cvt_f32_i32_e32 v211, v211                               // 00000000B408: 7FA60BD3
	v_mul_f32_e32 v208, v24, v208                              // 00000000B40C: 0BA1A118
	v_mul_f32_e32 v209, v24, v209                              // 00000000B410: 0BA3A318
	v_mul_f32_e32 v210, v24, v210                              // 00000000B414: 0BA5A518
	v_mul_f32_e32 v211, v24, v211                              // 00000000B418: 0BA7A718
	v_mul_f32_dpp v208, v12, v208 row_newbcast:12 row_mask:0xf bank_mask:0xf// 00000000B41C: 0BA1A0FA FF015C0C
	v_mul_f32_dpp v209, v12, v209 row_newbcast:13 row_mask:0xf bank_mask:0xf// 00000000B424: 0BA3A2FA FF015D0C
	v_mul_f32_dpp v210, v12, v210 row_newbcast:14 row_mask:0xf bank_mask:0xf// 00000000B42C: 0BA5A4FA FF015E0C
	v_mul_f32_dpp v211, v12, v211 row_newbcast:15 row_mask:0xf bank_mask:0xf// 00000000B434: 0BA7A6FA FF015F0C
	v_mul_f32_e32 v208, v20, v208                              // 00000000B43C: 0BA1A114
	v_mul_f32_e32 v209, v20, v209                              // 00000000B440: 0BA3A314
	v_mul_f32_e32 v210, v20, v210                              // 00000000B444: 0BA5A514
	v_mul_f32_e32 v211, v20, v211                              // 00000000B448: 0BA7A714
	v_cvt_f32_i32_e32 v212, v212                               // 00000000B44C: 7FA80BD4
	v_cvt_f32_i32_e32 v213, v213                               // 00000000B450: 7FAA0BD5
	v_cvt_f32_i32_e32 v214, v214                               // 00000000B454: 7FAC0BD6
	v_cvt_f32_i32_e32 v215, v215                               // 00000000B458: 7FAE0BD7
	v_mul_f32_e32 v212, v25, v212                              // 00000000B45C: 0BA9A919
	v_mul_f32_e32 v213, v25, v213                              // 00000000B460: 0BABAB19
	v_mul_f32_e32 v214, v25, v214                              // 00000000B464: 0BADAD19
	v_mul_f32_e32 v215, v25, v215                              // 00000000B468: 0BAFAF19
	v_mul_f32_dpp v212, v12, v212 row_newbcast:12 row_mask:0xf bank_mask:0xf// 00000000B46C: 0BA9A8FA FF015C0C
	v_mul_f32_dpp v213, v12, v213 row_newbcast:13 row_mask:0xf bank_mask:0xf// 00000000B474: 0BABAAFA FF015D0C
	v_mul_f32_dpp v214, v12, v214 row_newbcast:14 row_mask:0xf bank_mask:0xf// 00000000B47C: 0BADACFA FF015E0C
	v_mul_f32_dpp v215, v12, v215 row_newbcast:15 row_mask:0xf bank_mask:0xf// 00000000B484: 0BAFAEFA FF015F0C
	v_mul_f32_e32 v212, v21, v212                              // 00000000B48C: 0BA9A915
	v_mul_f32_e32 v213, v21, v213                              // 00000000B490: 0BABAB15
	v_mul_f32_e32 v214, v21, v214                              // 00000000B494: 0BADAD15
	v_mul_f32_e32 v215, v21, v215                              // 00000000B498: 0BAFAF15
	v_cmp_u_f32_e64 s[48:49], v184, v184                       // 00000000B49C: D0480030 000371B8
	v_add3_u32 v45, v184, v48, 1                               // 00000000B4A4: D1FF002D 020661B8
	v_cndmask_b32_e64 v52, v45, v47, s[48:49]                  // 00000000B4AC: D1000034 00C25F2D
	v_cmp_u_f32_e64 s[48:49], v185, v185                       // 00000000B4B4: D0480030 000373B9
	v_add3_u32 v45, v185, v48, 1                               // 00000000B4BC: D1FF002D 020661B9
	v_cndmask_b32_e64 v53, v45, v47, s[48:49]                  // 00000000B4C4: D1000035 00C25F2D
	v_perm_b32 v184, v53, v52, s52                             // 00000000B4CC: D1ED00B8 00D26935
	v_cmp_u_f32_e64 s[48:49], v186, v186                       // 00000000B4D4: D0480030 000375BA
	v_add3_u32 v45, v186, v48, 1                               // 00000000B4DC: D1FF002D 020661BA
	v_cndmask_b32_e64 v52, v45, v47, s[48:49]                  // 00000000B4E4: D1000034 00C25F2D
	v_cmp_u_f32_e64 s[48:49], v187, v187                       // 00000000B4EC: D0480030 000377BB
	v_add3_u32 v45, v187, v48, 1                               // 00000000B4F4: D1FF002D 020661BB
	v_cndmask_b32_e64 v53, v45, v47, s[48:49]                  // 00000000B4FC: D1000035 00C25F2D
	v_perm_b32 v185, v53, v52, s52                             // 00000000B504: D1ED00B9 00D26935
	v_cmp_u_f32_e64 s[48:49], v188, v188                       // 00000000B50C: D0480030 000379BC
	v_add3_u32 v45, v188, v48, 1                               // 00000000B514: D1FF002D 020661BC
	v_cndmask_b32_e64 v52, v45, v47, s[48:49]                  // 00000000B51C: D1000034 00C25F2D
	v_cmp_u_f32_e64 s[48:49], v189, v189                       // 00000000B524: D0480030 00037BBD
	v_add3_u32 v45, v189, v48, 1                               // 00000000B52C: D1FF002D 020661BD
	v_cndmask_b32_e64 v53, v45, v47, s[48:49]                  // 00000000B534: D1000035 00C25F2D
	v_perm_b32 v186, v53, v52, s52                             // 00000000B53C: D1ED00BA 00D26935
	v_cmp_u_f32_e64 s[48:49], v190, v190                       // 00000000B544: D0480030 00037DBE
	v_add3_u32 v45, v190, v48, 1                               // 00000000B54C: D1FF002D 020661BE
	v_cndmask_b32_e64 v52, v45, v47, s[48:49]                  // 00000000B554: D1000034 00C25F2D
	v_cmp_u_f32_e64 s[48:49], v191, v191                       // 00000000B55C: D0480030 00037FBF
	v_add3_u32 v45, v191, v48, 1                               // 00000000B564: D1FF002D 020661BF
	v_cndmask_b32_e64 v53, v45, v47, s[48:49]                  // 00000000B56C: D1000035 00C25F2D
	v_perm_b32 v187, v53, v52, s52                             // 00000000B574: D1ED00BB 00D26935
	v_cmp_u_f32_e64 s[48:49], v192, v192                       // 00000000B57C: D0480030 000381C0
	v_add3_u32 v45, v192, v48, 1                               // 00000000B584: D1FF002D 020661C0
	v_cndmask_b32_e64 v52, v45, v47, s[48:49]                  // 00000000B58C: D1000034 00C25F2D
	v_cmp_u_f32_e64 s[48:49], v193, v193                       // 00000000B594: D0480030 000383C1
	v_add3_u32 v45, v193, v48, 1                               // 00000000B59C: D1FF002D 020661C1
	v_cndmask_b32_e64 v53, v45, v47, s[48:49]                  // 00000000B5A4: D1000035 00C25F2D
	v_perm_b32 v188, v53, v52, s52                             // 00000000B5AC: D1ED00BC 00D26935
	v_cmp_u_f32_e64 s[48:49], v194, v194                       // 00000000B5B4: D0480030 000385C2
	v_add3_u32 v45, v194, v48, 1                               // 00000000B5BC: D1FF002D 020661C2
	v_cndmask_b32_e64 v52, v45, v47, s[48:49]                  // 00000000B5C4: D1000034 00C25F2D
	v_cmp_u_f32_e64 s[48:49], v195, v195                       // 00000000B5CC: D0480030 000387C3
	v_add3_u32 v45, v195, v48, 1                               // 00000000B5D4: D1FF002D 020661C3
	v_cndmask_b32_e64 v53, v45, v47, s[48:49]                  // 00000000B5DC: D1000035 00C25F2D
	v_perm_b32 v189, v53, v52, s52                             // 00000000B5E4: D1ED00BD 00D26935
	v_cmp_u_f32_e64 s[48:49], v196, v196                       // 00000000B5EC: D0480030 000389C4
	v_add3_u32 v45, v196, v48, 1                               // 00000000B5F4: D1FF002D 020661C4
	v_cndmask_b32_e64 v52, v45, v47, s[48:49]                  // 00000000B5FC: D1000034 00C25F2D
	v_cmp_u_f32_e64 s[48:49], v197, v197                       // 00000000B604: D0480030 00038BC5
	v_add3_u32 v45, v197, v48, 1                               // 00000000B60C: D1FF002D 020661C5
	v_cndmask_b32_e64 v53, v45, v47, s[48:49]                  // 00000000B614: D1000035 00C25F2D
	v_perm_b32 v190, v53, v52, s52                             // 00000000B61C: D1ED00BE 00D26935
	v_cmp_u_f32_e64 s[48:49], v198, v198                       // 00000000B624: D0480030 00038DC6
	v_add3_u32 v45, v198, v48, 1                               // 00000000B62C: D1FF002D 020661C6
	v_cndmask_b32_e64 v52, v45, v47, s[48:49]                  // 00000000B634: D1000034 00C25F2D
	v_cmp_u_f32_e64 s[48:49], v199, v199                       // 00000000B63C: D0480030 00038FC7
	v_add3_u32 v45, v199, v48, 1                               // 00000000B644: D1FF002D 020661C7
	v_cndmask_b32_e64 v53, v45, v47, s[48:49]                  // 00000000B64C: D1000035 00C25F2D
	v_perm_b32 v191, v53, v52, s52                             // 00000000B654: D1ED00BF 00D26935
	v_cmp_u_f32_e64 s[48:49], v200, v200                       // 00000000B65C: D0480030 000391C8
	v_add3_u32 v45, v200, v48, 1                               // 00000000B664: D1FF002D 020661C8
	v_cndmask_b32_e64 v52, v45, v47, s[48:49]                  // 00000000B66C: D1000034 00C25F2D
	v_cmp_u_f32_e64 s[48:49], v201, v201                       // 00000000B674: D0480030 000393C9
	v_add3_u32 v45, v201, v48, 1                               // 00000000B67C: D1FF002D 020661C9
	v_cndmask_b32_e64 v53, v45, v47, s[48:49]                  // 00000000B684: D1000035 00C25F2D
	v_perm_b32 v192, v53, v52, s52                             // 00000000B68C: D1ED00C0 00D26935
	v_cmp_u_f32_e64 s[48:49], v202, v202                       // 00000000B694: D0480030 000395CA
	v_add3_u32 v45, v202, v48, 1                               // 00000000B69C: D1FF002D 020661CA
	v_cndmask_b32_e64 v52, v45, v47, s[48:49]                  // 00000000B6A4: D1000034 00C25F2D
	v_cmp_u_f32_e64 s[48:49], v203, v203                       // 00000000B6AC: D0480030 000397CB
	v_add3_u32 v45, v203, v48, 1                               // 00000000B6B4: D1FF002D 020661CB
	v_cndmask_b32_e64 v53, v45, v47, s[48:49]                  // 00000000B6BC: D1000035 00C25F2D
	v_perm_b32 v193, v53, v52, s52                             // 00000000B6C4: D1ED00C1 00D26935
	v_cmp_u_f32_e64 s[48:49], v204, v204                       // 00000000B6CC: D0480030 000399CC
	v_add3_u32 v45, v204, v48, 1                               // 00000000B6D4: D1FF002D 020661CC
	v_cndmask_b32_e64 v52, v45, v47, s[48:49]                  // 00000000B6DC: D1000034 00C25F2D
	v_cmp_u_f32_e64 s[48:49], v205, v205                       // 00000000B6E4: D0480030 00039BCD
	v_add3_u32 v45, v205, v48, 1                               // 00000000B6EC: D1FF002D 020661CD
	v_cndmask_b32_e64 v53, v45, v47, s[48:49]                  // 00000000B6F4: D1000035 00C25F2D
	v_perm_b32 v194, v53, v52, s52                             // 00000000B6FC: D1ED00C2 00D26935
	v_cmp_u_f32_e64 s[48:49], v206, v206                       // 00000000B704: D0480030 00039DCE
	v_add3_u32 v45, v206, v48, 1                               // 00000000B70C: D1FF002D 020661CE
	v_cndmask_b32_e64 v52, v45, v47, s[48:49]                  // 00000000B714: D1000034 00C25F2D
	v_cmp_u_f32_e64 s[48:49], v207, v207                       // 00000000B71C: D0480030 00039FCF
	v_add3_u32 v45, v207, v48, 1                               // 00000000B724: D1FF002D 020661CF
	v_cndmask_b32_e64 v53, v45, v47, s[48:49]                  // 00000000B72C: D1000035 00C25F2D
	v_perm_b32 v195, v53, v52, s52                             // 00000000B734: D1ED00C3 00D26935
	v_cmp_u_f32_e64 s[48:49], v208, v208                       // 00000000B73C: D0480030 0003A1D0
	v_add3_u32 v45, v208, v48, 1                               // 00000000B744: D1FF002D 020661D0
	v_cndmask_b32_e64 v52, v45, v47, s[48:49]                  // 00000000B74C: D1000034 00C25F2D
	v_cmp_u_f32_e64 s[48:49], v209, v209                       // 00000000B754: D0480030 0003A3D1
	v_add3_u32 v45, v209, v48, 1                               // 00000000B75C: D1FF002D 020661D1
	v_cndmask_b32_e64 v53, v45, v47, s[48:49]                  // 00000000B764: D1000035 00C25F2D
	v_perm_b32 v196, v53, v52, s52                             // 00000000B76C: D1ED00C4 00D26935
	v_cmp_u_f32_e64 s[48:49], v210, v210                       // 00000000B774: D0480030 0003A5D2
	v_add3_u32 v45, v210, v48, 1                               // 00000000B77C: D1FF002D 020661D2
	v_cndmask_b32_e64 v52, v45, v47, s[48:49]                  // 00000000B784: D1000034 00C25F2D
	v_cmp_u_f32_e64 s[48:49], v211, v211                       // 00000000B78C: D0480030 0003A7D3
	v_add3_u32 v45, v211, v48, 1                               // 00000000B794: D1FF002D 020661D3
	v_cndmask_b32_e64 v53, v45, v47, s[48:49]                  // 00000000B79C: D1000035 00C25F2D
	v_perm_b32 v197, v53, v52, s52                             // 00000000B7A4: D1ED00C5 00D26935
	v_cmp_u_f32_e64 s[48:49], v212, v212                       // 00000000B7AC: D0480030 0003A9D4
	v_add3_u32 v45, v212, v48, 1                               // 00000000B7B4: D1FF002D 020661D4
	v_cndmask_b32_e64 v52, v45, v47, s[48:49]                  // 00000000B7BC: D1000034 00C25F2D
	v_cmp_u_f32_e64 s[48:49], v213, v213                       // 00000000B7C4: D0480030 0003ABD5
	v_add3_u32 v45, v213, v48, 1                               // 00000000B7CC: D1FF002D 020661D5
	v_cndmask_b32_e64 v53, v45, v47, s[48:49]                  // 00000000B7D4: D1000035 00C25F2D
	v_perm_b32 v198, v53, v52, s52                             // 00000000B7DC: D1ED00C6 00D26935
	v_cmp_u_f32_e64 s[48:49], v214, v214                       // 00000000B7E4: D0480030 0003ADD6
	v_add3_u32 v45, v214, v48, 1                               // 00000000B7EC: D1FF002D 020661D6
	v_cndmask_b32_e64 v52, v45, v47, s[48:49]                  // 00000000B7F4: D1000034 00C25F2D
	v_cmp_u_f32_e64 s[48:49], v215, v215                       // 00000000B7FC: D0480030 0003AFD7
	v_add3_u32 v45, v215, v48, 1                               // 00000000B804: D1FF002D 020661D7
	v_cndmask_b32_e64 v53, v45, v47, s[48:49]                  // 00000000B80C: D1000035 00C25F2D
	v_perm_b32 v199, v53, v52, s52                             // 00000000B814: D1ED00C7 00D26935
	ds_write_b64 v3, v[184:185] offset:33024                   // 00000000B81C: D89A8100 0000B803
	ds_write_b64 v3, v[186:187] offset:41728                   // 00000000B824: D89AA300 0000BA03
	ds_write_b64 v3, v[188:189] offset:35200                   // 00000000B82C: D89A8980 0000BC03
	ds_write_b64 v3, v[190:191] offset:43904                   // 00000000B834: D89AAB80 0000BE03
	ds_write_b64 v3, v[192:193] offset:37376                   // 00000000B83C: D89A9200 0000C003
	ds_write_b64 v3, v[194:195] offset:46080                   // 00000000B844: D89AB400 0000C203
	ds_write_b64 v3, v[196:197] offset:39552                   // 00000000B84C: D89A9A80 0000C403
	ds_write_b64 v3, v[198:199] offset:48256                   // 00000000B854: D89ABC80 0000C603
	s_waitcnt lgkmcnt(0)                                       // 00000000B85C: BF8CC07F
	s_barrier                                                  // 00000000B860: BF8A0000
	ds_read_b32 v64, v4 offset:33024                           // 00000000B864: D86C8100 40000004
	ds_read_b32 v65, v4 offset:37376                           // 00000000B86C: D86C9200 41000004
	ds_read_b32 v66, v4 offset:33056                           // 00000000B874: D86C8120 42000004
	ds_read_b32 v67, v4 offset:37408                           // 00000000B87C: D86C9220 43000004
	ds_read_b32 v68, v4 offset:33088                           // 00000000B884: D86C8140 44000004
	ds_read_b32 v69, v4 offset:37440                           // 00000000B88C: D86C9240 45000004
	ds_read_b32 v70, v4 offset:33120                           // 00000000B894: D86C8160 46000004
	ds_read_b32 v71, v4 offset:37472                           // 00000000B89C: D86C9260 47000004
	ds_read_b32 v72, v4 offset:41728                           // 00000000B8A4: D86CA300 48000004
	ds_read_b32 v73, v4 offset:46080                           // 00000000B8AC: D86CB400 49000004
	ds_read_b32 v74, v4 offset:41760                           // 00000000B8B4: D86CA320 4A000004
	ds_read_b32 v75, v4 offset:46112                           // 00000000B8BC: D86CB420 4B000004
	ds_read_b32 v76, v4 offset:41792                           // 00000000B8C4: D86CA340 4C000004
	ds_read_b32 v77, v4 offset:46144                           // 00000000B8CC: D86CB440 4D000004
	ds_read_b32 v78, v4 offset:41824                           // 00000000B8D4: D86CA360 4E000004
	ds_read_b32 v79, v4 offset:46176                           // 00000000B8DC: D86CB460 4F000004
	s_waitcnt lgkmcnt(0)                                       // 00000000B8E4: BF8CC07F
	s_mov_b64 exec, s[20:21]                                   // 00000000B8E8: BEFE0114
	global_atomic_pk_add_bf16 v80, v64, s[8:9]                 // 00000000B8EC: DD488000 00084050
	s_mov_b64 exec, s[36:37]                                   // 00000000B8F4: BEFE0124
	s_mov_b64 exec, s[20:21]                                   // 00000000B8F8: BEFE0114
	global_atomic_pk_add_bf16 v80, v65, s[8:9] offset:256      // 00000000B8FC: DD488100 00084150
	s_mov_b64 exec, s[36:37]                                   // 00000000B904: BEFE0124
	s_mov_b64 exec, s[22:23]                                   // 00000000B908: BEFE0116
	global_atomic_pk_add_bf16 v82, v66, s[8:9]                 // 00000000B90C: DD488000 00084252
	s_mov_b64 exec, s[36:37]                                   // 00000000B914: BEFE0124
	s_mov_b64 exec, s[22:23]                                   // 00000000B918: BEFE0116
	global_atomic_pk_add_bf16 v82, v67, s[8:9] offset:256      // 00000000B91C: DD488100 00084352
	s_mov_b64 exec, s[36:37]                                   // 00000000B924: BEFE0124
	s_mov_b64 exec, s[24:25]                                   // 00000000B928: BEFE0118
	global_atomic_pk_add_bf16 v84, v68, s[8:9]                 // 00000000B92C: DD488000 00084454
	s_mov_b64 exec, s[36:37]                                   // 00000000B934: BEFE0124
	s_mov_b64 exec, s[24:25]                                   // 00000000B938: BEFE0118
	global_atomic_pk_add_bf16 v84, v69, s[8:9] offset:256      // 00000000B93C: DD488100 00084554
	s_mov_b64 exec, s[36:37]                                   // 00000000B944: BEFE0124
	s_mov_b64 exec, s[26:27]                                   // 00000000B948: BEFE011A
	global_atomic_pk_add_bf16 v86, v70, s[8:9]                 // 00000000B94C: DD488000 00084656
	s_mov_b64 exec, s[36:37]                                   // 00000000B954: BEFE0124
	s_mov_b64 exec, s[26:27]                                   // 00000000B958: BEFE011A
	global_atomic_pk_add_bf16 v86, v71, s[8:9] offset:256      // 00000000B95C: DD488100 00084756
	s_mov_b64 exec, s[36:37]                                   // 00000000B964: BEFE0124
	s_mov_b64 exec, s[28:29]                                   // 00000000B968: BEFE011C
	global_atomic_pk_add_bf16 v88, v72, s[8:9]                 // 00000000B96C: DD488000 00084858
	s_mov_b64 exec, s[36:37]                                   // 00000000B974: BEFE0124
	s_mov_b64 exec, s[28:29]                                   // 00000000B978: BEFE011C
	global_atomic_pk_add_bf16 v88, v73, s[8:9] offset:256      // 00000000B97C: DD488100 00084958
	s_mov_b64 exec, s[36:37]                                   // 00000000B984: BEFE0124
	s_mov_b64 exec, s[30:31]                                   // 00000000B988: BEFE011E
	global_atomic_pk_add_bf16 v90, v74, s[8:9]                 // 00000000B98C: DD488000 00084A5A
	s_mov_b64 exec, s[36:37]                                   // 00000000B994: BEFE0124
	s_mov_b64 exec, s[30:31]                                   // 00000000B998: BEFE011E
	global_atomic_pk_add_bf16 v90, v75, s[8:9] offset:256      // 00000000B99C: DD488100 00084B5A
	s_mov_b64 exec, s[36:37]                                   // 00000000B9A4: BEFE0124
	s_mov_b64 exec, s[32:33]                                   // 00000000B9A8: BEFE0120
	global_atomic_pk_add_bf16 v92, v76, s[8:9]                 // 00000000B9AC: DD488000 00084C5C
	s_mov_b64 exec, s[36:37]                                   // 00000000B9B4: BEFE0124
	s_mov_b64 exec, s[32:33]                                   // 00000000B9B8: BEFE0120
	global_atomic_pk_add_bf16 v92, v77, s[8:9] offset:256      // 00000000B9BC: DD488100 00084D5C
	s_mov_b64 exec, s[36:37]                                   // 00000000B9C4: BEFE0124
	s_mov_b64 exec, s[34:35]                                   // 00000000B9C8: BEFE0122
	global_atomic_pk_add_bf16 v94, v78, s[8:9]                 // 00000000B9CC: DD488000 00084E5E
	s_mov_b64 exec, s[36:37]                                   // 00000000B9D4: BEFE0124
	s_mov_b64 exec, s[34:35]                                   // 00000000B9D8: BEFE0122
	global_atomic_pk_add_bf16 v94, v79, s[8:9] offset:256      // 00000000B9DC: DD488100 00084F5E
	s_mov_b64 exec, s[36:37]                                   // 00000000B9E4: BEFE0124
	s_add_u32 s8, s59, s8                                      // 00000000B9E8: 8008083B
	s_addc_u32 s9, 0, s9                                       // 00000000B9EC: 82090980
	s_addk_i32 s80, 0x100                                      // 00000000B9F0: B7500100
	s_cmp_lt_i32 s80, s81                                      // 00000000B9F4: BF045150
	s_cbranch_scc0 label_149C                                  // 00000000B9F8: BF84F19D
	s_waitcnt vmcnt(41)                                        // 00000000B9FC: BF8C8F79
	s_barrier                                                  // 00000000BA00: BF8A0000
	v_mfma_i32_16x16x32_i8 v[216:219], a[112:113], v[128:129], 0// 00000000BA04: D3D700D8 0A030170
	buffer_load_dwordx4 a[0:3], v41, s[12:15], 0 offen         // 00000000BA0C: E05C1000 80830029
	v_mfma_i32_16x16x32_i8 v[216:219], a[114:115], v[130:131], v[216:219]// 00000000BA14: D3D700D8 0F630572
	v_mfma_i32_16x16x32_i8 v[220:223], a[112:113], v[156:157], 0// 00000000BA1C: D3D700DC 0A033970
	v_mfma_i32_16x16x32_i8 v[220:223], a[114:115], v[158:159], v[220:223]// 00000000BA24: D3D700DC 0F733D72
	v_mfma_i32_16x16x32_i8 v[224:227], a[116:117], v[128:129], 0// 00000000BA2C: D3D700E0 0A030174
	buffer_load_dwordx4 a[4:7], v42, s[12:15], 0 offen         // 00000000BA34: E05C1000 8083042A
	v_mfma_i32_16x16x32_i8 v[224:227], a[118:119], v[130:131], v[224:227]// 00000000BA3C: D3D700E0 0F830576
	v_mfma_i32_16x16x32_i8 v[228:231], a[116:117], v[156:157], 0// 00000000BA44: D3D700E4 0A033974
	v_mfma_i32_16x16x32_i8 v[228:231], a[118:119], v[158:159], v[228:231]// 00000000BA4C: D3D700E4 0F933D76
	v_mfma_i32_16x16x32_i8 v[232:235], a[120:121], v[128:129], 0// 00000000BA54: D3D700E8 0A030178
	buffer_load_dwordx4 a[8:11], v43, s[12:15], 0 offen        // 00000000BA5C: E05C1000 8083082B
	v_mfma_i32_16x16x32_i8 v[232:235], a[122:123], v[130:131], v[232:235]// 00000000BA64: D3D700E8 0FA3057A
	v_mfma_i32_16x16x32_i8 v[236:239], a[120:121], v[156:157], 0// 00000000BA6C: D3D700EC 0A033978
	v_mfma_i32_16x16x32_i8 v[236:239], a[122:123], v[158:159], v[236:239]// 00000000BA74: D3D700EC 0FB33D7A
	v_mfma_i32_16x16x32_i8 v[240:243], a[124:125], v[128:129], 0// 00000000BA7C: D3D700F0 0A03017C
	buffer_load_dwordx4 a[12:15], v44, s[12:15], 0 offen       // 00000000BA84: E05C1000 80830C2C
	s_add_u32 s12, s78, s12                                    // 00000000BA8C: 800C0C4E
	s_addc_u32 s13, 0, s13                                     // 00000000BA90: 820D0D80
	v_mfma_i32_16x16x32_i8 v[240:243], a[126:127], v[130:131], v[240:243]// 00000000BA94: D3D700F0 0FC3057E
	v_mfma_i32_16x16x32_i8 v[244:247], a[124:125], v[156:157], 0// 00000000BA9C: D3D700F4 0A03397C
	v_mfma_i32_16x16x32_i8 v[244:247], a[126:127], v[158:159], v[244:247]// 00000000BAA4: D3D700F4 0FD33D7E
	s_waitcnt vmcnt(41)                                        // 00000000BAAC: BF8C8F79
	v_mfma_i32_16x16x32_i8 v[216:219], a[128:129], v[132:133], v[216:219]// 00000000BAB0: D3D700D8 0F630980
	buffer_load_dwordx4 a[16:19], v41, s[12:15], 0 offen       // 00000000BAB8: E05C1000 80831029
	v_mfma_i32_16x16x32_i8 v[216:219], a[130:131], v[134:135], v[216:219]// 00000000BAC0: D3D700D8 0F630D82
	v_mfma_i32_16x16x32_i8 v[220:223], a[128:129], v[160:161], v[220:223]// 00000000BAC8: D3D700DC 0F734180
	v_mfma_i32_16x16x32_i8 v[220:223], a[130:131], v[162:163], v[220:223]// 00000000BAD0: D3D700DC 0F734582
	v_mfma_i32_16x16x32_i8 v[224:227], a[132:133], v[132:133], v[224:227]// 00000000BAD8: D3D700E0 0F830984
	buffer_load_dwordx4 a[20:23], v42, s[12:15], 0 offen       // 00000000BAE0: E05C1000 8083142A
	v_mfma_i32_16x16x32_i8 v[224:227], a[134:135], v[134:135], v[224:227]// 00000000BAE8: D3D700E0 0F830D86
	v_mfma_i32_16x16x32_i8 v[228:231], a[132:133], v[160:161], v[228:231]// 00000000BAF0: D3D700E4 0F934184
	v_mfma_i32_16x16x32_i8 v[228:231], a[134:135], v[162:163], v[228:231]// 00000000BAF8: D3D700E4 0F934586
	v_mfma_i32_16x16x32_i8 v[232:235], a[136:137], v[132:133], v[232:235]// 00000000BB00: D3D700E8 0FA30988
	buffer_load_dwordx4 a[24:27], v43, s[12:15], 0 offen       // 00000000BB08: E05C1000 8083182B
	v_mfma_i32_16x16x32_i8 v[232:235], a[138:139], v[134:135], v[232:235]// 00000000BB10: D3D700E8 0FA30D8A
	v_mfma_i32_16x16x32_i8 v[236:239], a[136:137], v[160:161], v[236:239]// 00000000BB18: D3D700EC 0FB34188
	v_mfma_i32_16x16x32_i8 v[236:239], a[138:139], v[162:163], v[236:239]// 00000000BB20: D3D700EC 0FB3458A
	v_mfma_i32_16x16x32_i8 v[240:243], a[140:141], v[132:133], v[240:243]// 00000000BB28: D3D700F0 0FC3098C
	buffer_load_dwordx4 a[28:31], v44, s[12:15], 0 offen       // 00000000BB30: E05C1000 80831C2C
	s_add_u32 s12, s78, s12                                    // 00000000BB38: 800C0C4E
	s_addc_u32 s13, 0, s13                                     // 00000000BB3C: 820D0D80
	v_mfma_i32_16x16x32_i8 v[240:243], a[142:143], v[134:135], v[240:243]// 00000000BB40: D3D700F0 0FC30D8E
	v_mfma_i32_16x16x32_i8 v[244:247], a[140:141], v[160:161], v[244:247]// 00000000BB48: D3D700F4 0FD3418C
	v_mfma_i32_16x16x32_i8 v[244:247], a[142:143], v[162:163], v[244:247]// 00000000BB50: D3D700F4 0FD3458E
	s_waitcnt vmcnt(41)                                        // 00000000BB58: BF8C8F79
	v_mfma_i32_16x16x32_i8 v[216:219], a[144:145], v[136:137], v[216:219]// 00000000BB5C: D3D700D8 0F631190
	buffer_load_dwordx4 a[32:35], v41, s[12:15], 0 offen       // 00000000BB64: E05C1000 80832029
	v_mfma_i32_16x16x32_i8 v[216:219], a[146:147], v[138:139], v[216:219]// 00000000BB6C: D3D700D8 0F631592
	v_mfma_i32_16x16x32_i8 v[220:223], a[144:145], v[164:165], v[220:223]// 00000000BB74: D3D700DC 0F734990
	v_mfma_i32_16x16x32_i8 v[220:223], a[146:147], v[166:167], v[220:223]// 00000000BB7C: D3D700DC 0F734D92
	v_mfma_i32_16x16x32_i8 v[224:227], a[148:149], v[136:137], v[224:227]// 00000000BB84: D3D700E0 0F831194
	buffer_load_dwordx4 a[36:39], v42, s[12:15], 0 offen       // 00000000BB8C: E05C1000 8083242A
	v_mfma_i32_16x16x32_i8 v[224:227], a[150:151], v[138:139], v[224:227]// 00000000BB94: D3D700E0 0F831596
	v_mfma_i32_16x16x32_i8 v[228:231], a[148:149], v[164:165], v[228:231]// 00000000BB9C: D3D700E4 0F934994
	v_mfma_i32_16x16x32_i8 v[228:231], a[150:151], v[166:167], v[228:231]// 00000000BBA4: D3D700E4 0F934D96
	v_mfma_i32_16x16x32_i8 v[232:235], a[152:153], v[136:137], v[232:235]// 00000000BBAC: D3D700E8 0FA31198
	buffer_load_dwordx4 a[40:43], v43, s[12:15], 0 offen       // 00000000BBB4: E05C1000 8083282B
	v_mfma_i32_16x16x32_i8 v[232:235], a[154:155], v[138:139], v[232:235]// 00000000BBBC: D3D700E8 0FA3159A
	v_mfma_i32_16x16x32_i8 v[236:239], a[152:153], v[164:165], v[236:239]// 00000000BBC4: D3D700EC 0FB34998
	v_mfma_i32_16x16x32_i8 v[236:239], a[154:155], v[166:167], v[236:239]// 00000000BBCC: D3D700EC 0FB34D9A
	v_mfma_i32_16x16x32_i8 v[240:243], a[156:157], v[136:137], v[240:243]// 00000000BBD4: D3D700F0 0FC3119C
	buffer_load_dwordx4 a[44:47], v44, s[12:15], 0 offen       // 00000000BBDC: E05C1000 80832C2C
	s_add_u32 s12, s78, s12                                    // 00000000BBE4: 800C0C4E
	s_addc_u32 s13, 0, s13                                     // 00000000BBE8: 820D0D80
	v_mfma_i32_16x16x32_i8 v[240:243], a[158:159], v[138:139], v[240:243]// 00000000BBEC: D3D700F0 0FC3159E
	v_mfma_i32_16x16x32_i8 v[244:247], a[156:157], v[164:165], v[244:247]// 00000000BBF4: D3D700F4 0FD3499C
	v_mfma_i32_16x16x32_i8 v[244:247], a[158:159], v[166:167], v[244:247]// 00000000BBFC: D3D700F4 0FD34D9E
	s_waitcnt vmcnt(41)                                        // 00000000BC04: BF8C8F79
	v_mfma_i32_16x16x32_i8 v[216:219], a[160:161], v[140:141], v[216:219]// 00000000BC08: D3D700D8 0F6319A0
	buffer_load_dwordx4 a[48:51], v41, s[12:15], 0 offen       // 00000000BC10: E05C1000 80833029
	v_mfma_i32_16x16x32_i8 v[216:219], a[162:163], v[142:143], v[216:219]// 00000000BC18: D3D700D8 0F631DA2
	v_mfma_i32_16x16x32_i8 v[220:223], a[160:161], v[168:169], v[220:223]// 00000000BC20: D3D700DC 0F7351A0
	v_mfma_i32_16x16x32_i8 v[220:223], a[162:163], v[170:171], v[220:223]// 00000000BC28: D3D700DC 0F7355A2
	v_mfma_i32_16x16x32_i8 v[224:227], a[164:165], v[140:141], v[224:227]// 00000000BC30: D3D700E0 0F8319A4
	buffer_load_dwordx4 a[52:55], v42, s[12:15], 0 offen       // 00000000BC38: E05C1000 8083342A
	v_mfma_i32_16x16x32_i8 v[224:227], a[166:167], v[142:143], v[224:227]// 00000000BC40: D3D700E0 0F831DA6
	v_mfma_i32_16x16x32_i8 v[228:231], a[164:165], v[168:169], v[228:231]// 00000000BC48: D3D700E4 0F9351A4
	v_mfma_i32_16x16x32_i8 v[228:231], a[166:167], v[170:171], v[228:231]// 00000000BC50: D3D700E4 0F9355A6
	v_mfma_i32_16x16x32_i8 v[232:235], a[168:169], v[140:141], v[232:235]// 00000000BC58: D3D700E8 0FA319A8
	buffer_load_dwordx4 a[56:59], v43, s[12:15], 0 offen       // 00000000BC60: E05C1000 8083382B
	v_mfma_i32_16x16x32_i8 v[232:235], a[170:171], v[142:143], v[232:235]// 00000000BC68: D3D700E8 0FA31DAA
	v_mfma_i32_16x16x32_i8 v[236:239], a[168:169], v[168:169], v[236:239]// 00000000BC70: D3D700EC 0FB351A8
	v_mfma_i32_16x16x32_i8 v[236:239], a[170:171], v[170:171], v[236:239]// 00000000BC78: D3D700EC 0FB355AA
	v_mfma_i32_16x16x32_i8 v[240:243], a[172:173], v[140:141], v[240:243]// 00000000BC80: D3D700F0 0FC319AC
	buffer_load_dwordx4 a[60:63], v44, s[12:15], 0 offen       // 00000000BC88: E05C1000 80833C2C
	s_add_u32 s12, s78, s12                                    // 00000000BC90: 800C0C4E
	s_addc_u32 s13, 0, s13                                     // 00000000BC94: 820D0D80
	v_mfma_i32_16x16x32_i8 v[240:243], a[174:175], v[142:143], v[240:243]// 00000000BC98: D3D700F0 0FC31DAE
	v_mfma_i32_16x16x32_i8 v[244:247], a[172:173], v[168:169], v[244:247]// 00000000BCA0: D3D700F4 0FD351AC
	v_mfma_i32_16x16x32_i8 v[244:247], a[174:175], v[170:171], v[244:247]// 00000000BCA8: D3D700F4 0FD355AE
	s_waitcnt vmcnt(41)                                        // 00000000BCB0: BF8C8F79
	v_mfma_i32_16x16x32_i8 v[216:219], a[176:177], v[144:145], v[216:219]// 00000000BCB4: D3D700D8 0F6321B0
	buffer_load_dwordx4 a[64:67], v41, s[12:15], 0 offen       // 00000000BCBC: E05C1000 80834029
	v_mfma_i32_16x16x32_i8 v[216:219], a[178:179], v[146:147], v[216:219]// 00000000BCC4: D3D700D8 0F6325B2
	v_mfma_i32_16x16x32_i8 v[220:223], a[176:177], v[172:173], v[220:223]// 00000000BCCC: D3D700DC 0F7359B0
	v_mfma_i32_16x16x32_i8 v[220:223], a[178:179], v[174:175], v[220:223]// 00000000BCD4: D3D700DC 0F735DB2
	v_mfma_i32_16x16x32_i8 v[224:227], a[180:181], v[144:145], v[224:227]// 00000000BCDC: D3D700E0 0F8321B4
	buffer_load_dwordx4 a[68:71], v42, s[12:15], 0 offen       // 00000000BCE4: E05C1000 8083442A
	v_mfma_i32_16x16x32_i8 v[224:227], a[182:183], v[146:147], v[224:227]// 00000000BCEC: D3D700E0 0F8325B6
	v_mfma_i32_16x16x32_i8 v[228:231], a[180:181], v[172:173], v[228:231]// 00000000BCF4: D3D700E4 0F9359B4
	v_mfma_i32_16x16x32_i8 v[228:231], a[182:183], v[174:175], v[228:231]// 00000000BCFC: D3D700E4 0F935DB6
	v_mfma_i32_16x16x32_i8 v[232:235], a[184:185], v[144:145], v[232:235]// 00000000BD04: D3D700E8 0FA321B8
	buffer_load_dwordx4 a[72:75], v43, s[12:15], 0 offen       // 00000000BD0C: E05C1000 8083482B
	v_mfma_i32_16x16x32_i8 v[232:235], a[186:187], v[146:147], v[232:235]// 00000000BD14: D3D700E8 0FA325BA
	v_mfma_i32_16x16x32_i8 v[236:239], a[184:185], v[172:173], v[236:239]// 00000000BD1C: D3D700EC 0FB359B8
	v_mfma_i32_16x16x32_i8 v[236:239], a[186:187], v[174:175], v[236:239]// 00000000BD24: D3D700EC 0FB35DBA
	v_mfma_i32_16x16x32_i8 v[240:243], a[188:189], v[144:145], v[240:243]// 00000000BD2C: D3D700F0 0FC321BC
	buffer_load_dwordx4 a[76:79], v44, s[12:15], 0 offen       // 00000000BD34: E05C1000 80834C2C
	s_add_u32 s12, s78, s12                                    // 00000000BD3C: 800C0C4E
	s_addc_u32 s13, 0, s13                                     // 00000000BD40: 820D0D80
	v_mfma_i32_16x16x32_i8 v[240:243], a[190:191], v[146:147], v[240:243]// 00000000BD44: D3D700F0 0FC325BE
	v_mfma_i32_16x16x32_i8 v[244:247], a[188:189], v[172:173], v[244:247]// 00000000BD4C: D3D700F4 0FD359BC
	v_mfma_i32_16x16x32_i8 v[244:247], a[190:191], v[174:175], v[244:247]// 00000000BD54: D3D700F4 0FD35DBE
	s_waitcnt vmcnt(41)                                        // 00000000BD5C: BF8C8F79
	v_mfma_i32_16x16x32_i8 v[216:219], a[192:193], v[148:149], v[216:219]// 00000000BD60: D3D700D8 0F6329C0
	buffer_load_dwordx4 a[80:83], v41, s[12:15], 0 offen       // 00000000BD68: E05C1000 80835029
	v_mfma_i32_16x16x32_i8 v[216:219], a[194:195], v[150:151], v[216:219]// 00000000BD70: D3D700D8 0F632DC2
	v_mfma_i32_16x16x32_i8 v[220:223], a[192:193], v[176:177], v[220:223]// 00000000BD78: D3D700DC 0F7361C0
	v_mfma_i32_16x16x32_i8 v[220:223], a[194:195], v[178:179], v[220:223]// 00000000BD80: D3D700DC 0F7365C2
	v_mfma_i32_16x16x32_i8 v[224:227], a[196:197], v[148:149], v[224:227]// 00000000BD88: D3D700E0 0F8329C4
	buffer_load_dwordx4 a[84:87], v42, s[12:15], 0 offen       // 00000000BD90: E05C1000 8083542A
	v_mfma_i32_16x16x32_i8 v[224:227], a[198:199], v[150:151], v[224:227]// 00000000BD98: D3D700E0 0F832DC6
	v_mfma_i32_16x16x32_i8 v[228:231], a[196:197], v[176:177], v[228:231]// 00000000BDA0: D3D700E4 0F9361C4
	v_mfma_i32_16x16x32_i8 v[228:231], a[198:199], v[178:179], v[228:231]// 00000000BDA8: D3D700E4 0F9365C6
	v_mfma_i32_16x16x32_i8 v[232:235], a[200:201], v[148:149], v[232:235]// 00000000BDB0: D3D700E8 0FA329C8
	buffer_load_dwordx4 a[88:91], v43, s[12:15], 0 offen       // 00000000BDB8: E05C1000 8083582B
	v_mfma_i32_16x16x32_i8 v[232:235], a[202:203], v[150:151], v[232:235]// 00000000BDC0: D3D700E8 0FA32DCA
	v_mfma_i32_16x16x32_i8 v[236:239], a[200:201], v[176:177], v[236:239]// 00000000BDC8: D3D700EC 0FB361C8
	v_mfma_i32_16x16x32_i8 v[236:239], a[202:203], v[178:179], v[236:239]// 00000000BDD0: D3D700EC 0FB365CA
	v_mfma_i32_16x16x32_i8 v[240:243], a[204:205], v[148:149], v[240:243]// 00000000BDD8: D3D700F0 0FC329CC
	buffer_load_dwordx4 a[92:95], v44, s[12:15], 0 offen       // 00000000BDE0: E05C1000 80835C2C
	s_add_u32 s12, s78, s12                                    // 00000000BDE8: 800C0C4E
	s_addc_u32 s13, 0, s13                                     // 00000000BDEC: 820D0D80
	v_mfma_i32_16x16x32_i8 v[240:243], a[206:207], v[150:151], v[240:243]// 00000000BDF0: D3D700F0 0FC32DCE
	v_mfma_i32_16x16x32_i8 v[244:247], a[204:205], v[176:177], v[244:247]// 00000000BDF8: D3D700F4 0FD361CC
	v_mfma_i32_16x16x32_i8 v[244:247], a[206:207], v[178:179], v[244:247]// 00000000BE00: D3D700F4 0FD365CE
	s_waitcnt vmcnt(40)                                        // 00000000BE08: BF8C8F78
	v_mfma_i32_16x16x32_i8 v[216:219], a[208:209], v[152:153], v[216:219]// 00000000BE0C: D3D700D8 0F6331D0
	buffer_load_dwordx4 a[96:99], v41, s[12:15], 0 offen       // 00000000BE14: E05C1000 80836029
	v_mfma_i32_16x16x32_i8 v[216:219], a[210:211], v[154:155], v[216:219]// 00000000BE1C: D3D700D8 0F6335D2
	v_mfma_i32_16x16x32_i8 v[220:223], a[208:209], v[180:181], v[220:223]// 00000000BE24: D3D700DC 0F7369D0
	buffer_load_dword v12, v5, s[16:19], 0 offen               // 00000000BE2C: E0501000 80040C05
	v_mfma_i32_16x16x32_i8 v[220:223], a[210:211], v[182:183], v[220:223]// 00000000BE34: D3D700DC 0F736DD2
	v_mfma_i32_16x16x32_i8 v[224:227], a[212:213], v[152:153], v[224:227]// 00000000BE3C: D3D700E0 0F8331D4
	buffer_load_dwordx4 a[100:103], v42, s[12:15], 0 offen     // 00000000BE44: E05C1000 8083642A
	v_mfma_i32_16x16x32_i8 v[224:227], a[214:215], v[154:155], v[224:227]// 00000000BE4C: D3D700E0 0F8335D6
	v_mfma_i32_16x16x32_i8 v[228:231], a[212:213], v[180:181], v[228:231]// 00000000BE54: D3D700E4 0F9369D4
	v_mfma_i32_16x16x32_i8 v[228:231], a[214:215], v[182:183], v[228:231]// 00000000BE5C: D3D700E4 0F936DD6
	v_mfma_i32_16x16x32_i8 v[232:235], a[216:217], v[152:153], v[232:235]// 00000000BE64: D3D700E8 0FA331D8
	buffer_load_dwordx4 a[104:107], v43, s[12:15], 0 offen     // 00000000BE6C: E05C1000 8083682B
	v_mfma_i32_16x16x32_i8 v[232:235], a[218:219], v[154:155], v[232:235]// 00000000BE74: D3D700E8 0FA335DA
	v_mfma_i32_16x16x32_i8 v[236:239], a[216:217], v[180:181], v[236:239]// 00000000BE7C: D3D700EC 0FB369D8
	v_mfma_i32_16x16x32_i8 v[236:239], a[218:219], v[182:183], v[236:239]// 00000000BE84: D3D700EC 0FB36DDA
	v_mfma_i32_16x16x32_i8 v[240:243], a[220:221], v[152:153], v[240:243]// 00000000BE8C: D3D700F0 0FC331DC
	buffer_load_dwordx4 a[108:111], v44, s[12:15], 0 offen     // 00000000BE94: E05C1000 80836C2C
	v_mfma_i32_16x16x32_i8 v[240:243], a[222:223], v[154:155], v[240:243]// 00000000BE9C: D3D700F0 0FC335DE
	v_mfma_i32_16x16x32_i8 v[244:247], a[220:221], v[180:181], v[244:247]// 00000000BEA4: D3D700F4 0FD369DC
	v_mfma_i32_16x16x32_i8 v[244:247], a[222:223], v[182:183], v[244:247]// 00000000BEAC: D3D700F4 0FD36DDE
	s_add_u32 s60, 0x200, s80                                  // 00000000BEB4: 803C50FF 00000200
	s_cmp_lt_u32 s60, s81                                      // 00000000BEBC: BF0A513C
	s_cselect_b32 s56, s56, 0                                  // 00000000BEC0: 85388038
	s_cselect_b32 s78, s78, 0                                  // 00000000BEC4: 854E804E
	s_cselect_b32 s79, s79, 0                                  // 00000000BEC8: 854F804F
	s_add_u32 s12, s56, s12                                    // 00000000BECC: 800C0C38
	s_addc_u32 s13, 0, s13                                     // 00000000BED0: 820D0D80
	s_add_u32 s16, s79, s16                                    // 00000000BED4: 8010104F
	s_addc_u32 s17, 0, s17                                     // 00000000BED8: 82111180
	v_cvt_f32_i32_e32 v216, v216                               // 00000000BEDC: 7FB00BD8
	v_cvt_f32_i32_e32 v217, v217                               // 00000000BEE0: 7FB20BD9
	v_cvt_f32_i32_e32 v218, v218                               // 00000000BEE4: 7FB40BDA
	v_cvt_f32_i32_e32 v219, v219                               // 00000000BEE8: 7FB60BDB
	v_mul_f32_e32 v216, v24, v216                              // 00000000BEEC: 0BB1B118
	v_mul_f32_e32 v217, v24, v217                              // 00000000BEF0: 0BB3B318
	v_mul_f32_e32 v218, v24, v218                              // 00000000BEF4: 0BB5B518
	v_mul_f32_e32 v219, v24, v219                              // 00000000BEF8: 0BB7B718
	v_mul_f32_dpp v216, v13, v216 row_newbcast:0 row_mask:0xf bank_mask:0xf// 00000000BEFC: 0BB1B0FA FF01500D
	v_mul_f32_dpp v217, v13, v217 row_newbcast:1 row_mask:0xf bank_mask:0xf// 00000000BF04: 0BB3B2FA FF01510D
	v_mul_f32_dpp v218, v13, v218 row_newbcast:2 row_mask:0xf bank_mask:0xf// 00000000BF0C: 0BB5B4FA FF01520D
	v_mul_f32_dpp v219, v13, v219 row_newbcast:3 row_mask:0xf bank_mask:0xf// 00000000BF14: 0BB7B6FA FF01530D
	v_mul_f32_e32 v216, v20, v216                              // 00000000BF1C: 0BB1B114
	v_mul_f32_e32 v217, v20, v217                              // 00000000BF20: 0BB3B314
	v_mul_f32_e32 v218, v20, v218                              // 00000000BF24: 0BB5B514
	v_mul_f32_e32 v219, v20, v219                              // 00000000BF28: 0BB7B714
	v_cvt_f32_i32_e32 v220, v220                               // 00000000BF2C: 7FB80BDC
	v_cvt_f32_i32_e32 v221, v221                               // 00000000BF30: 7FBA0BDD
	v_cvt_f32_i32_e32 v222, v222                               // 00000000BF34: 7FBC0BDE
	v_cvt_f32_i32_e32 v223, v223                               // 00000000BF38: 7FBE0BDF
	v_mul_f32_e32 v220, v25, v220                              // 00000000BF3C: 0BB9B919
	v_mul_f32_e32 v221, v25, v221                              // 00000000BF40: 0BBBBB19
	v_mul_f32_e32 v222, v25, v222                              // 00000000BF44: 0BBDBD19
	v_mul_f32_e32 v223, v25, v223                              // 00000000BF48: 0BBFBF19
	v_mul_f32_dpp v220, v13, v220 row_newbcast:0 row_mask:0xf bank_mask:0xf// 00000000BF4C: 0BB9B8FA FF01500D
	v_mul_f32_dpp v221, v13, v221 row_newbcast:1 row_mask:0xf bank_mask:0xf// 00000000BF54: 0BBBBAFA FF01510D
	v_mul_f32_dpp v222, v13, v222 row_newbcast:2 row_mask:0xf bank_mask:0xf// 00000000BF5C: 0BBDBCFA FF01520D
	v_mul_f32_dpp v223, v13, v223 row_newbcast:3 row_mask:0xf bank_mask:0xf// 00000000BF64: 0BBFBEFA FF01530D
	v_mul_f32_e32 v220, v21, v220                              // 00000000BF6C: 0BB9B915
	v_mul_f32_e32 v221, v21, v221                              // 00000000BF70: 0BBBBB15
	v_mul_f32_e32 v222, v21, v222                              // 00000000BF74: 0BBDBD15
	v_mul_f32_e32 v223, v21, v223                              // 00000000BF78: 0BBFBF15
	v_cvt_f32_i32_e32 v224, v224                               // 00000000BF7C: 7FC00BE0
	v_cvt_f32_i32_e32 v225, v225                               // 00000000BF80: 7FC20BE1
	v_cvt_f32_i32_e32 v226, v226                               // 00000000BF84: 7FC40BE2
	v_cvt_f32_i32_e32 v227, v227                               // 00000000BF88: 7FC60BE3
	v_mul_f32_e32 v224, v24, v224                              // 00000000BF8C: 0BC1C118
	v_mul_f32_e32 v225, v24, v225                              // 00000000BF90: 0BC3C318
	v_mul_f32_e32 v226, v24, v226                              // 00000000BF94: 0BC5C518
	v_mul_f32_e32 v227, v24, v227                              // 00000000BF98: 0BC7C718
	v_mul_f32_dpp v224, v13, v224 row_newbcast:4 row_mask:0xf bank_mask:0xf// 00000000BF9C: 0BC1C0FA FF01540D
	v_mul_f32_dpp v225, v13, v225 row_newbcast:5 row_mask:0xf bank_mask:0xf// 00000000BFA4: 0BC3C2FA FF01550D
	v_mul_f32_dpp v226, v13, v226 row_newbcast:6 row_mask:0xf bank_mask:0xf// 00000000BFAC: 0BC5C4FA FF01560D
	v_mul_f32_dpp v227, v13, v227 row_newbcast:7 row_mask:0xf bank_mask:0xf// 00000000BFB4: 0BC7C6FA FF01570D
	v_mul_f32_e32 v224, v20, v224                              // 00000000BFBC: 0BC1C114
	v_mul_f32_e32 v225, v20, v225                              // 00000000BFC0: 0BC3C314
	v_mul_f32_e32 v226, v20, v226                              // 00000000BFC4: 0BC5C514
	v_mul_f32_e32 v227, v20, v227                              // 00000000BFC8: 0BC7C714
	v_cvt_f32_i32_e32 v228, v228                               // 00000000BFCC: 7FC80BE4
	v_cvt_f32_i32_e32 v229, v229                               // 00000000BFD0: 7FCA0BE5
	v_cvt_f32_i32_e32 v230, v230                               // 00000000BFD4: 7FCC0BE6
	v_cvt_f32_i32_e32 v231, v231                               // 00000000BFD8: 7FCE0BE7
	v_mul_f32_e32 v228, v25, v228                              // 00000000BFDC: 0BC9C919
	v_mul_f32_e32 v229, v25, v229                              // 00000000BFE0: 0BCBCB19
	v_mul_f32_e32 v230, v25, v230                              // 00000000BFE4: 0BCDCD19
	v_mul_f32_e32 v231, v25, v231                              // 00000000BFE8: 0BCFCF19
	v_mul_f32_dpp v228, v13, v228 row_newbcast:4 row_mask:0xf bank_mask:0xf// 00000000BFEC: 0BC9C8FA FF01540D
	v_mul_f32_dpp v229, v13, v229 row_newbcast:5 row_mask:0xf bank_mask:0xf// 00000000BFF4: 0BCBCAFA FF01550D
	v_mul_f32_dpp v230, v13, v230 row_newbcast:6 row_mask:0xf bank_mask:0xf// 00000000BFFC: 0BCDCCFA FF01560D
	v_mul_f32_dpp v231, v13, v231 row_newbcast:7 row_mask:0xf bank_mask:0xf// 00000000C004: 0BCFCEFA FF01570D
	v_mul_f32_e32 v228, v21, v228                              // 00000000C00C: 0BC9C915
	v_mul_f32_e32 v229, v21, v229                              // 00000000C010: 0BCBCB15
	v_mul_f32_e32 v230, v21, v230                              // 00000000C014: 0BCDCD15
	v_mul_f32_e32 v231, v21, v231                              // 00000000C018: 0BCFCF15
	v_cvt_f32_i32_e32 v232, v232                               // 00000000C01C: 7FD00BE8
	v_cvt_f32_i32_e32 v233, v233                               // 00000000C020: 7FD20BE9
	v_cvt_f32_i32_e32 v234, v234                               // 00000000C024: 7FD40BEA
	v_cvt_f32_i32_e32 v235, v235                               // 00000000C028: 7FD60BEB
	v_mul_f32_e32 v232, v24, v232                              // 00000000C02C: 0BD1D118
	v_mul_f32_e32 v233, v24, v233                              // 00000000C030: 0BD3D318
	v_mul_f32_e32 v234, v24, v234                              // 00000000C034: 0BD5D518
	v_mul_f32_e32 v235, v24, v235                              // 00000000C038: 0BD7D718
	v_mul_f32_dpp v232, v13, v232 row_newbcast:8 row_mask:0xf bank_mask:0xf// 00000000C03C: 0BD1D0FA FF01580D
	v_mul_f32_dpp v233, v13, v233 row_newbcast:9 row_mask:0xf bank_mask:0xf// 00000000C044: 0BD3D2FA FF01590D
	v_mul_f32_dpp v234, v13, v234 row_newbcast:10 row_mask:0xf bank_mask:0xf// 00000000C04C: 0BD5D4FA FF015A0D
	v_mul_f32_dpp v235, v13, v235 row_newbcast:11 row_mask:0xf bank_mask:0xf// 00000000C054: 0BD7D6FA FF015B0D
	v_mul_f32_e32 v232, v20, v232                              // 00000000C05C: 0BD1D114
	v_mul_f32_e32 v233, v20, v233                              // 00000000C060: 0BD3D314
	v_mul_f32_e32 v234, v20, v234                              // 00000000C064: 0BD5D514
	v_mul_f32_e32 v235, v20, v235                              // 00000000C068: 0BD7D714
	v_cvt_f32_i32_e32 v236, v236                               // 00000000C06C: 7FD80BEC
	v_cvt_f32_i32_e32 v237, v237                               // 00000000C070: 7FDA0BED
	v_cvt_f32_i32_e32 v238, v238                               // 00000000C074: 7FDC0BEE
	v_cvt_f32_i32_e32 v239, v239                               // 00000000C078: 7FDE0BEF
	v_mul_f32_e32 v236, v25, v236                              // 00000000C07C: 0BD9D919
	v_mul_f32_e32 v237, v25, v237                              // 00000000C080: 0BDBDB19
	v_mul_f32_e32 v238, v25, v238                              // 00000000C084: 0BDDDD19
	v_mul_f32_e32 v239, v25, v239                              // 00000000C088: 0BDFDF19
	v_mul_f32_dpp v236, v13, v236 row_newbcast:8 row_mask:0xf bank_mask:0xf// 00000000C08C: 0BD9D8FA FF01580D
	v_mul_f32_dpp v237, v13, v237 row_newbcast:9 row_mask:0xf bank_mask:0xf// 00000000C094: 0BDBDAFA FF01590D
	v_mul_f32_dpp v238, v13, v238 row_newbcast:10 row_mask:0xf bank_mask:0xf// 00000000C09C: 0BDDDCFA FF015A0D
	v_mul_f32_dpp v239, v13, v239 row_newbcast:11 row_mask:0xf bank_mask:0xf// 00000000C0A4: 0BDFDEFA FF015B0D
	v_mul_f32_e32 v236, v21, v236                              // 00000000C0AC: 0BD9D915
	v_mul_f32_e32 v237, v21, v237                              // 00000000C0B0: 0BDBDB15
	v_mul_f32_e32 v238, v21, v238                              // 00000000C0B4: 0BDDDD15
	v_mul_f32_e32 v239, v21, v239                              // 00000000C0B8: 0BDFDF15
	v_cvt_f32_i32_e32 v240, v240                               // 00000000C0BC: 7FE00BF0
	v_cvt_f32_i32_e32 v241, v241                               // 00000000C0C0: 7FE20BF1
	v_cvt_f32_i32_e32 v242, v242                               // 00000000C0C4: 7FE40BF2
	v_cvt_f32_i32_e32 v243, v243                               // 00000000C0C8: 7FE60BF3
	v_mul_f32_e32 v240, v24, v240                              // 00000000C0CC: 0BE1E118
	v_mul_f32_e32 v241, v24, v241                              // 00000000C0D0: 0BE3E318
	v_mul_f32_e32 v242, v24, v242                              // 00000000C0D4: 0BE5E518
	v_mul_f32_e32 v243, v24, v243                              // 00000000C0D8: 0BE7E718
	v_mul_f32_dpp v240, v13, v240 row_newbcast:12 row_mask:0xf bank_mask:0xf// 00000000C0DC: 0BE1E0FA FF015C0D
	v_mul_f32_dpp v241, v13, v241 row_newbcast:13 row_mask:0xf bank_mask:0xf// 00000000C0E4: 0BE3E2FA FF015D0D
	v_mul_f32_dpp v242, v13, v242 row_newbcast:14 row_mask:0xf bank_mask:0xf// 00000000C0EC: 0BE5E4FA FF015E0D
	v_mul_f32_dpp v243, v13, v243 row_newbcast:15 row_mask:0xf bank_mask:0xf// 00000000C0F4: 0BE7E6FA FF015F0D
	v_mul_f32_e32 v240, v20, v240                              // 00000000C0FC: 0BE1E114
	v_mul_f32_e32 v241, v20, v241                              // 00000000C100: 0BE3E314
	v_mul_f32_e32 v242, v20, v242                              // 00000000C104: 0BE5E514
	v_mul_f32_e32 v243, v20, v243                              // 00000000C108: 0BE7E714
	v_cvt_f32_i32_e32 v244, v244                               // 00000000C10C: 7FE80BF4
	v_cvt_f32_i32_e32 v245, v245                               // 00000000C110: 7FEA0BF5
	v_cvt_f32_i32_e32 v246, v246                               // 00000000C114: 7FEC0BF6
	v_cvt_f32_i32_e32 v247, v247                               // 00000000C118: 7FEE0BF7
	v_mul_f32_e32 v244, v25, v244                              // 00000000C11C: 0BE9E919
	v_mul_f32_e32 v245, v25, v245                              // 00000000C120: 0BEBEB19
	v_mul_f32_e32 v246, v25, v246                              // 00000000C124: 0BEDED19
	v_mul_f32_e32 v247, v25, v247                              // 00000000C128: 0BEFEF19
	v_mul_f32_dpp v244, v13, v244 row_newbcast:12 row_mask:0xf bank_mask:0xf// 00000000C12C: 0BE9E8FA FF015C0D
	v_mul_f32_dpp v245, v13, v245 row_newbcast:13 row_mask:0xf bank_mask:0xf// 00000000C134: 0BEBEAFA FF015D0D
	v_mul_f32_dpp v246, v13, v246 row_newbcast:14 row_mask:0xf bank_mask:0xf// 00000000C13C: 0BEDECFA FF015E0D
	v_mul_f32_dpp v247, v13, v247 row_newbcast:15 row_mask:0xf bank_mask:0xf// 00000000C144: 0BEFEEFA FF015F0D
	v_mul_f32_e32 v244, v21, v244                              // 00000000C14C: 0BE9E915
	v_mul_f32_e32 v245, v21, v245                              // 00000000C150: 0BEBEB15
	v_mul_f32_e32 v246, v21, v246                              // 00000000C154: 0BEDED15
	v_mul_f32_e32 v247, v21, v247                              // 00000000C158: 0BEFEF15
	v_cmp_u_f32_e64 s[48:49], v216, v216                       // 00000000C15C: D0480030 0003B1D8
	v_add3_u32 v45, v216, v48, 1                               // 00000000C164: D1FF002D 020661D8
	v_cndmask_b32_e64 v52, v45, v47, s[48:49]                  // 00000000C16C: D1000034 00C25F2D
	v_cmp_u_f32_e64 s[48:49], v217, v217                       // 00000000C174: D0480030 0003B3D9
	v_add3_u32 v45, v217, v48, 1                               // 00000000C17C: D1FF002D 020661D9
	v_cndmask_b32_e64 v53, v45, v47, s[48:49]                  // 00000000C184: D1000035 00C25F2D
	v_perm_b32 v216, v53, v52, s52                             // 00000000C18C: D1ED00D8 00D26935
	v_cmp_u_f32_e64 s[48:49], v218, v218                       // 00000000C194: D0480030 0003B5DA
	v_add3_u32 v45, v218, v48, 1                               // 00000000C19C: D1FF002D 020661DA
	v_cndmask_b32_e64 v52, v45, v47, s[48:49]                  // 00000000C1A4: D1000034 00C25F2D
	v_cmp_u_f32_e64 s[48:49], v219, v219                       // 00000000C1AC: D0480030 0003B7DB
	v_add3_u32 v45, v219, v48, 1                               // 00000000C1B4: D1FF002D 020661DB
	v_cndmask_b32_e64 v53, v45, v47, s[48:49]                  // 00000000C1BC: D1000035 00C25F2D
	v_perm_b32 v217, v53, v52, s52                             // 00000000C1C4: D1ED00D9 00D26935
	v_cmp_u_f32_e64 s[48:49], v220, v220                       // 00000000C1CC: D0480030 0003B9DC
	v_add3_u32 v45, v220, v48, 1                               // 00000000C1D4: D1FF002D 020661DC
	v_cndmask_b32_e64 v52, v45, v47, s[48:49]                  // 00000000C1DC: D1000034 00C25F2D
	v_cmp_u_f32_e64 s[48:49], v221, v221                       // 00000000C1E4: D0480030 0003BBDD
	v_add3_u32 v45, v221, v48, 1                               // 00000000C1EC: D1FF002D 020661DD
	v_cndmask_b32_e64 v53, v45, v47, s[48:49]                  // 00000000C1F4: D1000035 00C25F2D
	v_perm_b32 v218, v53, v52, s52                             // 00000000C1FC: D1ED00DA 00D26935
	v_cmp_u_f32_e64 s[48:49], v222, v222                       // 00000000C204: D0480030 0003BDDE
	v_add3_u32 v45, v222, v48, 1                               // 00000000C20C: D1FF002D 020661DE
	v_cndmask_b32_e64 v52, v45, v47, s[48:49]                  // 00000000C214: D1000034 00C25F2D
	v_cmp_u_f32_e64 s[48:49], v223, v223                       // 00000000C21C: D0480030 0003BFDF
	v_add3_u32 v45, v223, v48, 1                               // 00000000C224: D1FF002D 020661DF
	v_cndmask_b32_e64 v53, v45, v47, s[48:49]                  // 00000000C22C: D1000035 00C25F2D
	v_perm_b32 v219, v53, v52, s52                             // 00000000C234: D1ED00DB 00D26935
	v_cmp_u_f32_e64 s[48:49], v224, v224                       // 00000000C23C: D0480030 0003C1E0
	v_add3_u32 v45, v224, v48, 1                               // 00000000C244: D1FF002D 020661E0
	v_cndmask_b32_e64 v52, v45, v47, s[48:49]                  // 00000000C24C: D1000034 00C25F2D
	v_cmp_u_f32_e64 s[48:49], v225, v225                       // 00000000C254: D0480030 0003C3E1
	v_add3_u32 v45, v225, v48, 1                               // 00000000C25C: D1FF002D 020661E1
	v_cndmask_b32_e64 v53, v45, v47, s[48:49]                  // 00000000C264: D1000035 00C25F2D
	v_perm_b32 v220, v53, v52, s52                             // 00000000C26C: D1ED00DC 00D26935
	v_cmp_u_f32_e64 s[48:49], v226, v226                       // 00000000C274: D0480030 0003C5E2
	v_add3_u32 v45, v226, v48, 1                               // 00000000C27C: D1FF002D 020661E2
	v_cndmask_b32_e64 v52, v45, v47, s[48:49]                  // 00000000C284: D1000034 00C25F2D
	v_cmp_u_f32_e64 s[48:49], v227, v227                       // 00000000C28C: D0480030 0003C7E3
	v_add3_u32 v45, v227, v48, 1                               // 00000000C294: D1FF002D 020661E3
	v_cndmask_b32_e64 v53, v45, v47, s[48:49]                  // 00000000C29C: D1000035 00C25F2D
	v_perm_b32 v221, v53, v52, s52                             // 00000000C2A4: D1ED00DD 00D26935
	v_cmp_u_f32_e64 s[48:49], v228, v228                       // 00000000C2AC: D0480030 0003C9E4
	v_add3_u32 v45, v228, v48, 1                               // 00000000C2B4: D1FF002D 020661E4
	v_cndmask_b32_e64 v52, v45, v47, s[48:49]                  // 00000000C2BC: D1000034 00C25F2D
	v_cmp_u_f32_e64 s[48:49], v229, v229                       // 00000000C2C4: D0480030 0003CBE5
	v_add3_u32 v45, v229, v48, 1                               // 00000000C2CC: D1FF002D 020661E5
	v_cndmask_b32_e64 v53, v45, v47, s[48:49]                  // 00000000C2D4: D1000035 00C25F2D
	v_perm_b32 v222, v53, v52, s52                             // 00000000C2DC: D1ED00DE 00D26935
	v_cmp_u_f32_e64 s[48:49], v230, v230                       // 00000000C2E4: D0480030 0003CDE6
	v_add3_u32 v45, v230, v48, 1                               // 00000000C2EC: D1FF002D 020661E6
	v_cndmask_b32_e64 v52, v45, v47, s[48:49]                  // 00000000C2F4: D1000034 00C25F2D
	v_cmp_u_f32_e64 s[48:49], v231, v231                       // 00000000C2FC: D0480030 0003CFE7
	v_add3_u32 v45, v231, v48, 1                               // 00000000C304: D1FF002D 020661E7
	v_cndmask_b32_e64 v53, v45, v47, s[48:49]                  // 00000000C30C: D1000035 00C25F2D
	v_perm_b32 v223, v53, v52, s52                             // 00000000C314: D1ED00DF 00D26935
	v_cmp_u_f32_e64 s[48:49], v232, v232                       // 00000000C31C: D0480030 0003D1E8
	v_add3_u32 v45, v232, v48, 1                               // 00000000C324: D1FF002D 020661E8
	v_cndmask_b32_e64 v52, v45, v47, s[48:49]                  // 00000000C32C: D1000034 00C25F2D
	v_cmp_u_f32_e64 s[48:49], v233, v233                       // 00000000C334: D0480030 0003D3E9
	v_add3_u32 v45, v233, v48, 1                               // 00000000C33C: D1FF002D 020661E9
	v_cndmask_b32_e64 v53, v45, v47, s[48:49]                  // 00000000C344: D1000035 00C25F2D
	v_perm_b32 v224, v53, v52, s52                             // 00000000C34C: D1ED00E0 00D26935
	v_cmp_u_f32_e64 s[48:49], v234, v234                       // 00000000C354: D0480030 0003D5EA
	v_add3_u32 v45, v234, v48, 1                               // 00000000C35C: D1FF002D 020661EA
	v_cndmask_b32_e64 v52, v45, v47, s[48:49]                  // 00000000C364: D1000034 00C25F2D
	v_cmp_u_f32_e64 s[48:49], v235, v235                       // 00000000C36C: D0480030 0003D7EB
	v_add3_u32 v45, v235, v48, 1                               // 00000000C374: D1FF002D 020661EB
	v_cndmask_b32_e64 v53, v45, v47, s[48:49]                  // 00000000C37C: D1000035 00C25F2D
	v_perm_b32 v225, v53, v52, s52                             // 00000000C384: D1ED00E1 00D26935
	v_cmp_u_f32_e64 s[48:49], v236, v236                       // 00000000C38C: D0480030 0003D9EC
	v_add3_u32 v45, v236, v48, 1                               // 00000000C394: D1FF002D 020661EC
	v_cndmask_b32_e64 v52, v45, v47, s[48:49]                  // 00000000C39C: D1000034 00C25F2D
	v_cmp_u_f32_e64 s[48:49], v237, v237                       // 00000000C3A4: D0480030 0003DBED
	v_add3_u32 v45, v237, v48, 1                               // 00000000C3AC: D1FF002D 020661ED
	v_cndmask_b32_e64 v53, v45, v47, s[48:49]                  // 00000000C3B4: D1000035 00C25F2D
	v_perm_b32 v226, v53, v52, s52                             // 00000000C3BC: D1ED00E2 00D26935
	v_cmp_u_f32_e64 s[48:49], v238, v238                       // 00000000C3C4: D0480030 0003DDEE
	v_add3_u32 v45, v238, v48, 1                               // 00000000C3CC: D1FF002D 020661EE
	v_cndmask_b32_e64 v52, v45, v47, s[48:49]                  // 00000000C3D4: D1000034 00C25F2D
	v_cmp_u_f32_e64 s[48:49], v239, v239                       // 00000000C3DC: D0480030 0003DFEF
	v_add3_u32 v45, v239, v48, 1                               // 00000000C3E4: D1FF002D 020661EF
	v_cndmask_b32_e64 v53, v45, v47, s[48:49]                  // 00000000C3EC: D1000035 00C25F2D
	v_perm_b32 v227, v53, v52, s52                             // 00000000C3F4: D1ED00E3 00D26935
	v_cmp_u_f32_e64 s[48:49], v240, v240                       // 00000000C3FC: D0480030 0003E1F0
	v_add3_u32 v45, v240, v48, 1                               // 00000000C404: D1FF002D 020661F0
	v_cndmask_b32_e64 v52, v45, v47, s[48:49]                  // 00000000C40C: D1000034 00C25F2D
	v_cmp_u_f32_e64 s[48:49], v241, v241                       // 00000000C414: D0480030 0003E3F1
	v_add3_u32 v45, v241, v48, 1                               // 00000000C41C: D1FF002D 020661F1
	v_cndmask_b32_e64 v53, v45, v47, s[48:49]                  // 00000000C424: D1000035 00C25F2D
	v_perm_b32 v228, v53, v52, s52                             // 00000000C42C: D1ED00E4 00D26935
	v_cmp_u_f32_e64 s[48:49], v242, v242                       // 00000000C434: D0480030 0003E5F2
	v_add3_u32 v45, v242, v48, 1                               // 00000000C43C: D1FF002D 020661F2
	v_cndmask_b32_e64 v52, v45, v47, s[48:49]                  // 00000000C444: D1000034 00C25F2D
	v_cmp_u_f32_e64 s[48:49], v243, v243                       // 00000000C44C: D0480030 0003E7F3
	v_add3_u32 v45, v243, v48, 1                               // 00000000C454: D1FF002D 020661F3
	v_cndmask_b32_e64 v53, v45, v47, s[48:49]                  // 00000000C45C: D1000035 00C25F2D
	v_perm_b32 v229, v53, v52, s52                             // 00000000C464: D1ED00E5 00D26935
	v_cmp_u_f32_e64 s[48:49], v244, v244                       // 00000000C46C: D0480030 0003E9F4
	v_add3_u32 v45, v244, v48, 1                               // 00000000C474: D1FF002D 020661F4
	v_cndmask_b32_e64 v52, v45, v47, s[48:49]                  // 00000000C47C: D1000034 00C25F2D
	v_cmp_u_f32_e64 s[48:49], v245, v245                       // 00000000C484: D0480030 0003EBF5
	v_add3_u32 v45, v245, v48, 1                               // 00000000C48C: D1FF002D 020661F5
	v_cndmask_b32_e64 v53, v45, v47, s[48:49]                  // 00000000C494: D1000035 00C25F2D
	v_perm_b32 v230, v53, v52, s52                             // 00000000C49C: D1ED00E6 00D26935
	v_cmp_u_f32_e64 s[48:49], v246, v246                       // 00000000C4A4: D0480030 0003EDF6
	v_add3_u32 v45, v246, v48, 1                               // 00000000C4AC: D1FF002D 020661F6
	v_cndmask_b32_e64 v52, v45, v47, s[48:49]                  // 00000000C4B4: D1000034 00C25F2D
	v_cmp_u_f32_e64 s[48:49], v247, v247                       // 00000000C4BC: D0480030 0003EFF7
	v_add3_u32 v45, v247, v48, 1                               // 00000000C4C4: D1FF002D 020661F7
	v_cndmask_b32_e64 v53, v45, v47, s[48:49]                  // 00000000C4CC: D1000035 00C25F2D
	v_perm_b32 v231, v53, v52, s52                             // 00000000C4D4: D1ED00E7 00D26935
	ds_write_b64 v3, v[216:217] offset:33024                   // 00000000C4DC: D89A8100 0000D803
	ds_write_b64 v3, v[218:219] offset:41728                   // 00000000C4E4: D89AA300 0000DA03
	ds_write_b64 v3, v[220:221] offset:35200                   // 00000000C4EC: D89A8980 0000DC03
	ds_write_b64 v3, v[222:223] offset:43904                   // 00000000C4F4: D89AAB80 0000DE03
	ds_write_b64 v3, v[224:225] offset:37376                   // 00000000C4FC: D89A9200 0000E003
	ds_write_b64 v3, v[226:227] offset:46080                   // 00000000C504: D89AB400 0000E203
	ds_write_b64 v3, v[228:229] offset:39552                   // 00000000C50C: D89A9A80 0000E403
	ds_write_b64 v3, v[230:231] offset:48256                   // 00000000C514: D89ABC80 0000E603
	s_waitcnt lgkmcnt(0)                                       // 00000000C51C: BF8CC07F
	s_barrier                                                  // 00000000C520: BF8A0000
	ds_read_b32 v64, v4 offset:33024                           // 00000000C524: D86C8100 40000004
	ds_read_b32 v65, v4 offset:37376                           // 00000000C52C: D86C9200 41000004
	ds_read_b32 v66, v4 offset:33056                           // 00000000C534: D86C8120 42000004
	ds_read_b32 v67, v4 offset:37408                           // 00000000C53C: D86C9220 43000004
	ds_read_b32 v68, v4 offset:33088                           // 00000000C544: D86C8140 44000004
	ds_read_b32 v69, v4 offset:37440                           // 00000000C54C: D86C9240 45000004
	ds_read_b32 v70, v4 offset:33120                           // 00000000C554: D86C8160 46000004
	ds_read_b32 v71, v4 offset:37472                           // 00000000C55C: D86C9260 47000004
	ds_read_b32 v72, v4 offset:41728                           // 00000000C564: D86CA300 48000004
	ds_read_b32 v73, v4 offset:46080                           // 00000000C56C: D86CB400 49000004
	ds_read_b32 v74, v4 offset:41760                           // 00000000C574: D86CA320 4A000004
	ds_read_b32 v75, v4 offset:46112                           // 00000000C57C: D86CB420 4B000004
	ds_read_b32 v76, v4 offset:41792                           // 00000000C584: D86CA340 4C000004
	ds_read_b32 v77, v4 offset:46144                           // 00000000C58C: D86CB440 4D000004
	ds_read_b32 v78, v4 offset:41824                           // 00000000C594: D86CA360 4E000004
	ds_read_b32 v79, v4 offset:46176                           // 00000000C59C: D86CB460 4F000004
	s_waitcnt lgkmcnt(0)                                       // 00000000C5A4: BF8CC07F
	s_mov_b64 exec, s[20:21]                                   // 00000000C5A8: BEFE0114
	global_atomic_pk_add_bf16 v80, v64, s[8:9]                 // 00000000C5AC: DD488000 00084050
	s_mov_b64 exec, s[36:37]                                   // 00000000C5B4: BEFE0124
	s_mov_b64 exec, s[20:21]                                   // 00000000C5B8: BEFE0114
	global_atomic_pk_add_bf16 v80, v65, s[8:9] offset:256      // 00000000C5BC: DD488100 00084150
	s_mov_b64 exec, s[36:37]                                   // 00000000C5C4: BEFE0124
	s_mov_b64 exec, s[22:23]                                   // 00000000C5C8: BEFE0116
	global_atomic_pk_add_bf16 v82, v66, s[8:9]                 // 00000000C5CC: DD488000 00084252
	s_mov_b64 exec, s[36:37]                                   // 00000000C5D4: BEFE0124
	s_mov_b64 exec, s[22:23]                                   // 00000000C5D8: BEFE0116
	global_atomic_pk_add_bf16 v82, v67, s[8:9] offset:256      // 00000000C5DC: DD488100 00084352
	s_mov_b64 exec, s[36:37]                                   // 00000000C5E4: BEFE0124
	s_mov_b64 exec, s[24:25]                                   // 00000000C5E8: BEFE0118
	global_atomic_pk_add_bf16 v84, v68, s[8:9]                 // 00000000C5EC: DD488000 00084454
	s_mov_b64 exec, s[36:37]                                   // 00000000C5F4: BEFE0124
	s_mov_b64 exec, s[24:25]                                   // 00000000C5F8: BEFE0118
	global_atomic_pk_add_bf16 v84, v69, s[8:9] offset:256      // 00000000C5FC: DD488100 00084554
	s_mov_b64 exec, s[36:37]                                   // 00000000C604: BEFE0124
	s_mov_b64 exec, s[26:27]                                   // 00000000C608: BEFE011A
	global_atomic_pk_add_bf16 v86, v70, s[8:9]                 // 00000000C60C: DD488000 00084656
	s_mov_b64 exec, s[36:37]                                   // 00000000C614: BEFE0124
	s_mov_b64 exec, s[26:27]                                   // 00000000C618: BEFE011A
	global_atomic_pk_add_bf16 v86, v71, s[8:9] offset:256      // 00000000C61C: DD488100 00084756
	s_mov_b64 exec, s[36:37]                                   // 00000000C624: BEFE0124
	s_mov_b64 exec, s[28:29]                                   // 00000000C628: BEFE011C
	global_atomic_pk_add_bf16 v88, v72, s[8:9]                 // 00000000C62C: DD488000 00084858
	s_mov_b64 exec, s[36:37]                                   // 00000000C634: BEFE0124
	s_mov_b64 exec, s[28:29]                                   // 00000000C638: BEFE011C
	global_atomic_pk_add_bf16 v88, v73, s[8:9] offset:256      // 00000000C63C: DD488100 00084958
	s_mov_b64 exec, s[36:37]                                   // 00000000C644: BEFE0124
	s_mov_b64 exec, s[30:31]                                   // 00000000C648: BEFE011E
	global_atomic_pk_add_bf16 v90, v74, s[8:9]                 // 00000000C64C: DD488000 00084A5A
	s_mov_b64 exec, s[36:37]                                   // 00000000C654: BEFE0124
	s_mov_b64 exec, s[30:31]                                   // 00000000C658: BEFE011E
	global_atomic_pk_add_bf16 v90, v75, s[8:9] offset:256      // 00000000C65C: DD488100 00084B5A
	s_mov_b64 exec, s[36:37]                                   // 00000000C664: BEFE0124
	s_mov_b64 exec, s[32:33]                                   // 00000000C668: BEFE0120
	global_atomic_pk_add_bf16 v92, v76, s[8:9]                 // 00000000C66C: DD488000 00084C5C
	s_mov_b64 exec, s[36:37]                                   // 00000000C674: BEFE0124
	s_mov_b64 exec, s[32:33]                                   // 00000000C678: BEFE0120
	global_atomic_pk_add_bf16 v92, v77, s[8:9] offset:256      // 00000000C67C: DD488100 00084D5C
	s_mov_b64 exec, s[36:37]                                   // 00000000C684: BEFE0124
	s_mov_b64 exec, s[34:35]                                   // 00000000C688: BEFE0122
	global_atomic_pk_add_bf16 v94, v78, s[8:9]                 // 00000000C68C: DD488000 00084E5E
	s_mov_b64 exec, s[36:37]                                   // 00000000C694: BEFE0124
	s_mov_b64 exec, s[34:35]                                   // 00000000C698: BEFE0122
	global_atomic_pk_add_bf16 v94, v79, s[8:9] offset:256      // 00000000C69C: DD488100 00084F5E
	s_mov_b64 exec, s[36:37]                                   // 00000000C6A4: BEFE0124
	s_add_u32 s8, s59, s8                                      // 00000000C6A8: 8008083B
	s_addc_u32 s9, 0, s9                                       // 00000000C6AC: 82090980
	s_addk_i32 s80, 0x100                                      // 00000000C6B0: B7500100
	s_cmp_lt_i32 s80, s81                                      // 00000000C6B4: BF045150
	s_cbranch_scc0 label_149C                                  // 00000000C6B8: BF84EE6D
	s_branch label_1FCF                                        // 00000000C6BC: BF82F99F

000000000000c6c0 <label_2630>:
	s_waitcnt vmcnt(0) expcnt(0) lgkmcnt(0)                    // 00000000C6C0: BF8C0000
	s_add_u32 s100, s100, 1                                    // 00000000C6C4: 80648164
	s_cmp_eq_u32 s96, 0                                        // 00000000C6C8: BF068060
	s_cbranch_scc0 label_0039                                  // 00000000C6CC: BF84DA05

000000000000c6d0 <label_2634>:
	s_waitcnt vmcnt(0) expcnt(0) lgkmcnt(0)                    // 00000000C6D0: BF8C0000
	s_endpgm                                                   // 00000000C6D4: BF810000
